;; amdgpu-corpus repo=ROCm/rocFFT kind=compiled arch=gfx1030 opt=O3
	.text
	.amdgcn_target "amdgcn-amd-amdhsa--gfx1030"
	.amdhsa_code_object_version 6
	.protected	fft_rtc_fwd_len442_factors_17_2_13_wgs_238_tpt_34_halfLds_dp_op_CI_CI_unitstride_sbrr_C2R_dirReg ; -- Begin function fft_rtc_fwd_len442_factors_17_2_13_wgs_238_tpt_34_halfLds_dp_op_CI_CI_unitstride_sbrr_C2R_dirReg
	.globl	fft_rtc_fwd_len442_factors_17_2_13_wgs_238_tpt_34_halfLds_dp_op_CI_CI_unitstride_sbrr_C2R_dirReg
	.p2align	8
	.type	fft_rtc_fwd_len442_factors_17_2_13_wgs_238_tpt_34_halfLds_dp_op_CI_CI_unitstride_sbrr_C2R_dirReg,@function
fft_rtc_fwd_len442_factors_17_2_13_wgs_238_tpt_34_halfLds_dp_op_CI_CI_unitstride_sbrr_C2R_dirReg: ; @fft_rtc_fwd_len442_factors_17_2_13_wgs_238_tpt_34_halfLds_dp_op_CI_CI_unitstride_sbrr_C2R_dirReg
; %bb.0:
	s_load_dwordx4 s[12:15], s[4:5], 0x0
	v_mul_u32_u24_e32 v1, 0x788, v0
	s_clause 0x1
	s_load_dwordx4 s[8:11], s[4:5], 0x58
	s_load_dwordx4 s[16:19], s[4:5], 0x18
	v_mov_b32_e32 v5, 0
	s_mov_b64 s[62:63], s[2:3]
	s_mov_b64 s[60:61], s[0:1]
	v_lshrrev_b32_e32 v3, 16, v1
	v_mov_b32_e32 v1, 0
	v_mov_b32_e32 v2, 0
	s_add_u32 s60, s60, s7
	s_addc_u32 s61, s61, 0
	v_mad_u64_u32 v[3:4], null, s6, 7, v[3:4]
	v_mov_b32_e32 v4, v5
	v_mov_b32_e32 v77, v2
	;; [unrolled: 1-line block ×5, first 2 shown]
	s_waitcnt lgkmcnt(0)
	v_cmp_lt_u64_e64 s0, s[14:15], 2
	s_and_b32 vcc_lo, exec_lo, s0
	s_cbranch_vccnz .LBB0_8
; %bb.1:
	s_load_dwordx2 s[0:1], s[4:5], 0x10
	v_mov_b32_e32 v1, 0
	v_mov_b32_e32 v2, 0
	s_add_u32 s2, s18, 8
	v_mov_b32_e32 v8, v4
	s_addc_u32 s3, s19, 0
	v_mov_b32_e32 v7, v3
	v_mov_b32_e32 v77, v2
	s_add_u32 s6, s16, 8
	v_mov_b32_e32 v76, v1
	s_addc_u32 s7, s17, 0
	s_mov_b64 s[22:23], 1
	s_waitcnt lgkmcnt(0)
	s_add_u32 s20, s0, 8
	s_addc_u32 s21, s1, 0
.LBB0_2:                                ; =>This Inner Loop Header: Depth=1
	s_load_dwordx2 s[24:25], s[20:21], 0x0
                                        ; implicit-def: $vgpr80_vgpr81
	s_mov_b32 s0, exec_lo
	s_waitcnt lgkmcnt(0)
	v_or_b32_e32 v6, s25, v8
	v_cmpx_ne_u64_e32 0, v[5:6]
	s_xor_b32 s1, exec_lo, s0
	s_cbranch_execz .LBB0_4
; %bb.3:                                ;   in Loop: Header=BB0_2 Depth=1
	v_cvt_f32_u32_e32 v4, s24
	v_cvt_f32_u32_e32 v6, s25
	s_sub_u32 s0, 0, s24
	s_subb_u32 s26, 0, s25
	v_fmac_f32_e32 v4, 0x4f800000, v6
	v_rcp_f32_e32 v4, v4
	v_mul_f32_e32 v4, 0x5f7ffffc, v4
	v_mul_f32_e32 v6, 0x2f800000, v4
	v_trunc_f32_e32 v6, v6
	v_fmac_f32_e32 v4, 0xcf800000, v6
	v_cvt_u32_f32_e32 v6, v6
	v_cvt_u32_f32_e32 v4, v4
	v_mul_lo_u32 v9, s0, v6
	v_mul_hi_u32 v10, s0, v4
	v_mul_lo_u32 v11, s26, v4
	v_add_nc_u32_e32 v9, v10, v9
	v_mul_lo_u32 v10, s0, v4
	v_add_nc_u32_e32 v9, v9, v11
	v_mul_hi_u32 v11, v4, v10
	v_mul_lo_u32 v12, v4, v9
	v_mul_hi_u32 v13, v4, v9
	v_mul_hi_u32 v14, v6, v10
	v_mul_lo_u32 v10, v6, v10
	v_mul_hi_u32 v15, v6, v9
	v_mul_lo_u32 v9, v6, v9
	v_add_co_u32 v11, vcc_lo, v11, v12
	v_add_co_ci_u32_e32 v12, vcc_lo, 0, v13, vcc_lo
	v_add_co_u32 v10, vcc_lo, v11, v10
	v_add_co_ci_u32_e32 v10, vcc_lo, v12, v14, vcc_lo
	v_add_co_ci_u32_e32 v11, vcc_lo, 0, v15, vcc_lo
	v_add_co_u32 v9, vcc_lo, v10, v9
	v_add_co_ci_u32_e32 v10, vcc_lo, 0, v11, vcc_lo
	v_add_co_u32 v4, vcc_lo, v4, v9
	v_add_co_ci_u32_e32 v6, vcc_lo, v6, v10, vcc_lo
	v_mul_hi_u32 v9, s0, v4
	v_mul_lo_u32 v11, s26, v4
	v_mul_lo_u32 v10, s0, v6
	v_add_nc_u32_e32 v9, v9, v10
	v_mul_lo_u32 v10, s0, v4
	v_add_nc_u32_e32 v9, v9, v11
	v_mul_hi_u32 v11, v4, v10
	v_mul_lo_u32 v12, v4, v9
	v_mul_hi_u32 v13, v4, v9
	v_mul_hi_u32 v14, v6, v10
	v_mul_lo_u32 v10, v6, v10
	v_mul_hi_u32 v15, v6, v9
	v_mul_lo_u32 v9, v6, v9
	v_add_co_u32 v11, vcc_lo, v11, v12
	v_add_co_ci_u32_e32 v12, vcc_lo, 0, v13, vcc_lo
	v_add_co_u32 v10, vcc_lo, v11, v10
	v_add_co_ci_u32_e32 v10, vcc_lo, v12, v14, vcc_lo
	v_add_co_ci_u32_e32 v11, vcc_lo, 0, v15, vcc_lo
	v_add_co_u32 v9, vcc_lo, v10, v9
	v_add_co_ci_u32_e32 v10, vcc_lo, 0, v11, vcc_lo
	v_add_co_u32 v4, vcc_lo, v4, v9
	v_add_co_ci_u32_e32 v6, vcc_lo, v6, v10, vcc_lo
	v_mul_hi_u32 v15, v7, v4
	v_mad_u64_u32 v[11:12], null, v8, v4, 0
	v_mad_u64_u32 v[9:10], null, v7, v6, 0
	;; [unrolled: 1-line block ×3, first 2 shown]
	v_add_co_u32 v4, vcc_lo, v15, v9
	v_add_co_ci_u32_e32 v6, vcc_lo, 0, v10, vcc_lo
	v_add_co_u32 v4, vcc_lo, v4, v11
	v_add_co_ci_u32_e32 v4, vcc_lo, v6, v12, vcc_lo
	v_add_co_ci_u32_e32 v6, vcc_lo, 0, v14, vcc_lo
	v_add_co_u32 v4, vcc_lo, v4, v13
	v_add_co_ci_u32_e32 v6, vcc_lo, 0, v6, vcc_lo
	v_mul_lo_u32 v11, s25, v4
	v_mad_u64_u32 v[9:10], null, s24, v4, 0
	v_mul_lo_u32 v12, s24, v6
	v_sub_co_u32 v9, vcc_lo, v7, v9
	v_add3_u32 v10, v10, v12, v11
	v_sub_nc_u32_e32 v11, v8, v10
	v_subrev_co_ci_u32_e64 v11, s0, s25, v11, vcc_lo
	v_add_co_u32 v12, s0, v4, 2
	v_add_co_ci_u32_e64 v13, s0, 0, v6, s0
	v_sub_co_u32 v14, s0, v9, s24
	v_sub_co_ci_u32_e32 v10, vcc_lo, v8, v10, vcc_lo
	v_subrev_co_ci_u32_e64 v11, s0, 0, v11, s0
	v_cmp_le_u32_e32 vcc_lo, s24, v14
	v_cmp_eq_u32_e64 s0, s25, v10
	v_cndmask_b32_e64 v14, 0, -1, vcc_lo
	v_cmp_le_u32_e32 vcc_lo, s25, v11
	v_cndmask_b32_e64 v15, 0, -1, vcc_lo
	v_cmp_le_u32_e32 vcc_lo, s24, v9
	v_cndmask_b32_e64 v9, 0, -1, vcc_lo
	v_cmp_le_u32_e32 vcc_lo, s25, v10
	v_cndmask_b32_e64 v16, 0, -1, vcc_lo
	v_cmp_eq_u32_e32 vcc_lo, s25, v11
	v_cndmask_b32_e64 v9, v16, v9, s0
	v_cndmask_b32_e32 v11, v15, v14, vcc_lo
	v_add_co_u32 v14, vcc_lo, v4, 1
	v_add_co_ci_u32_e32 v15, vcc_lo, 0, v6, vcc_lo
	v_cmp_ne_u32_e32 vcc_lo, 0, v11
	v_cndmask_b32_e32 v10, v15, v13, vcc_lo
	v_cndmask_b32_e32 v11, v14, v12, vcc_lo
	v_cmp_ne_u32_e32 vcc_lo, 0, v9
	v_cndmask_b32_e32 v81, v6, v10, vcc_lo
	v_cndmask_b32_e32 v80, v4, v11, vcc_lo
.LBB0_4:                                ;   in Loop: Header=BB0_2 Depth=1
	s_andn2_saveexec_b32 s0, s1
	s_cbranch_execz .LBB0_6
; %bb.5:                                ;   in Loop: Header=BB0_2 Depth=1
	v_cvt_f32_u32_e32 v4, s24
	s_sub_i32 s1, 0, s24
	v_mov_b32_e32 v81, v5
	v_rcp_iflag_f32_e32 v4, v4
	v_mul_f32_e32 v4, 0x4f7ffffe, v4
	v_cvt_u32_f32_e32 v4, v4
	v_mul_lo_u32 v6, s1, v4
	v_mul_hi_u32 v6, v4, v6
	v_add_nc_u32_e32 v4, v4, v6
	v_mul_hi_u32 v4, v7, v4
	v_mul_lo_u32 v6, v4, s24
	v_add_nc_u32_e32 v9, 1, v4
	v_sub_nc_u32_e32 v6, v7, v6
	v_subrev_nc_u32_e32 v10, s24, v6
	v_cmp_le_u32_e32 vcc_lo, s24, v6
	v_cndmask_b32_e32 v6, v6, v10, vcc_lo
	v_cndmask_b32_e32 v4, v4, v9, vcc_lo
	v_cmp_le_u32_e32 vcc_lo, s24, v6
	v_add_nc_u32_e32 v9, 1, v4
	v_cndmask_b32_e32 v80, v4, v9, vcc_lo
.LBB0_6:                                ;   in Loop: Header=BB0_2 Depth=1
	s_or_b32 exec_lo, exec_lo, s0
	v_mul_lo_u32 v4, v81, s24
	v_mul_lo_u32 v6, v80, s25
	s_load_dwordx2 s[0:1], s[6:7], 0x0
	v_mad_u64_u32 v[9:10], null, v80, s24, 0
	s_load_dwordx2 s[24:25], s[2:3], 0x0
	s_add_u32 s22, s22, 1
	s_addc_u32 s23, s23, 0
	s_add_u32 s2, s2, 8
	s_addc_u32 s3, s3, 0
	s_add_u32 s6, s6, 8
	v_add3_u32 v4, v10, v6, v4
	v_sub_co_u32 v6, vcc_lo, v7, v9
	s_addc_u32 s7, s7, 0
	s_add_u32 s20, s20, 8
	v_sub_co_ci_u32_e32 v4, vcc_lo, v8, v4, vcc_lo
	s_addc_u32 s21, s21, 0
	s_waitcnt lgkmcnt(0)
	v_mul_lo_u32 v7, s0, v4
	v_mul_lo_u32 v8, s1, v6
	v_mad_u64_u32 v[1:2], null, s0, v6, v[1:2]
	v_mul_lo_u32 v4, s24, v4
	v_mul_lo_u32 v9, s25, v6
	v_mad_u64_u32 v[76:77], null, s24, v6, v[76:77]
	v_cmp_ge_u64_e64 s0, s[22:23], s[14:15]
	v_add3_u32 v2, v8, v2, v7
	v_add3_u32 v77, v9, v77, v4
	s_and_b32 vcc_lo, exec_lo, s0
	s_cbranch_vccnz .LBB0_8
; %bb.7:                                ;   in Loop: Header=BB0_2 Depth=1
	v_mov_b32_e32 v7, v80
	v_mov_b32_e32 v8, v81
	s_branch .LBB0_2
.LBB0_8:
	v_mul_hi_u32 v4, 0x24924925, v3
	s_load_dwordx2 s[0:1], s[4:5], 0x28
	s_lshl_b64 s[4:5], s[14:15], 3
                                        ; implicit-def: $vgpr78
	s_add_u32 s2, s18, s4
	s_addc_u32 s3, s19, s5
	v_sub_nc_u32_e32 v5, v3, v4
	v_lshrrev_b32_e32 v5, 1, v5
	v_add_nc_u32_e32 v4, v5, v4
	s_waitcnt lgkmcnt(0)
	v_cmp_gt_u64_e32 vcc_lo, s[0:1], v[80:81]
	v_cmp_le_u64_e64 s0, s[0:1], v[80:81]
	v_lshrrev_b32_e32 v4, 2, v4
	v_mul_lo_u32 v5, v4, 7
	v_mul_hi_u32 v4, 0x7878788, v0
	v_sub_nc_u32_e32 v3, v3, v5
	s_and_saveexec_b32 s1, s0
	s_xor_b32 s0, exec_lo, s1
; %bb.9:
	v_mul_u32_u24_e32 v1, 34, v4
                                        ; implicit-def: $vgpr4
	v_sub_nc_u32_e32 v78, v0, v1
                                        ; implicit-def: $vgpr0
                                        ; implicit-def: $vgpr1_vgpr2
; %bb.10:
	s_or_saveexec_b32 s1, s0
	s_load_dwordx2 s[2:3], s[2:3], 0x0
	v_mul_u32_u24_e32 v3, 0x1bb, v3
	v_lshlrev_b32_e32 v255, 4, v3
	s_xor_b32 exec_lo, exec_lo, s1
	s_cbranch_execz .LBB0_14
; %bb.11:
	s_add_u32 s4, s16, s4
	s_addc_u32 s5, s17, s5
	v_lshlrev_b64 v[1:2], 4, v[1:2]
	s_load_dwordx2 s[4:5], s[4:5], 0x0
	s_waitcnt lgkmcnt(0)
	v_mul_lo_u32 v7, s5, v80
	v_mul_lo_u32 v8, s4, v81
	v_mad_u64_u32 v[5:6], null, s4, v80, 0
	s_mov_b32 s4, exec_lo
	v_add3_u32 v6, v6, v8, v7
	v_mul_u32_u24_e32 v7, 34, v4
	v_lshlrev_b64 v[4:5], 4, v[5:6]
	v_sub_nc_u32_e32 v78, v0, v7
	v_lshlrev_b32_e32 v56, 4, v78
	v_add_co_u32 v0, s0, s8, v4
	v_add_co_ci_u32_e64 v4, s0, s9, v5, s0
	v_add_co_u32 v0, s0, v0, v1
	v_add_co_ci_u32_e64 v1, s0, v4, v2, s0
	v_add3_u32 v2, 0, v255, v56
	v_add_co_u32 v20, s0, v0, v56
	v_add_co_ci_u32_e64 v21, s0, 0, v1, s0
	s_clause 0x3
	global_load_dwordx4 v[4:7], v[20:21], off
	global_load_dwordx4 v[8:11], v[20:21], off offset:544
	global_load_dwordx4 v[12:15], v[20:21], off offset:1088
	;; [unrolled: 1-line block ×3, first 2 shown]
	v_add_co_u32 v32, s0, 0x800, v20
	v_add_co_ci_u32_e64 v33, s0, 0, v21, s0
	v_add_co_u32 v48, s0, 0x1000, v20
	v_add_co_ci_u32_e64 v49, s0, 0, v21, s0
	;; [unrolled: 2-line block ×3, first 2 shown]
	s_clause 0x8
	global_load_dwordx4 v[20:23], v[32:33], off offset:128
	global_load_dwordx4 v[24:27], v[32:33], off offset:672
	;; [unrolled: 1-line block ×9, first 2 shown]
	s_waitcnt vmcnt(12)
	ds_write_b128 v2, v[4:7]
	s_waitcnt vmcnt(11)
	ds_write_b128 v2, v[8:11] offset:544
	s_waitcnt vmcnt(10)
	ds_write_b128 v2, v[12:15] offset:1088
	;; [unrolled: 2-line block ×12, first 2 shown]
	v_cmpx_eq_u32_e32 33, v78
	s_cbranch_execz .LBB0_13
; %bb.12:
	v_add_co_u32 v0, s0, 0x1800, v0
	v_add_co_ci_u32_e64 v1, s0, 0, v1, s0
	v_mov_b32_e32 v78, 33
	global_load_dwordx4 v[4:7], v[0:1], off offset:928
	s_waitcnt vmcnt(0)
	ds_write_b128 v2, v[4:7] offset:6544
.LBB0_13:
	s_or_b32 exec_lo, exec_lo, s4
.LBB0_14:
	s_or_b32 exec_lo, exec_lo, s1
	v_lshl_add_u32 v210, v3, 4, 0
	v_lshlrev_b32_e32 v10, 4, v78
	s_waitcnt lgkmcnt(0)
	s_barrier
	buffer_gl0_inv
	s_add_u32 s1, s12, 0x1a90
	v_add_nc_u32_e32 v212, v210, v10
	v_sub_nc_u32_e32 v11, v210, v10
	s_addc_u32 s4, s13, 0
	s_mov_b32 s5, exec_lo
	ds_read_b64 v[6:7], v212
	ds_read_b64 v[8:9], v11 offset:7072
                                        ; implicit-def: $vgpr4_vgpr5
	s_waitcnt lgkmcnt(0)
	v_add_f64 v[0:1], v[6:7], v[8:9]
	v_add_f64 v[2:3], v[6:7], -v[8:9]
	v_cmpx_ne_u32_e32 0, v78
	s_xor_b32 s5, exec_lo, s5
	s_cbranch_execz .LBB0_16
; %bb.15:
	v_mov_b32_e32 v79, 0
	v_add_f64 v[14:15], v[6:7], v[8:9]
	v_add_f64 v[16:17], v[6:7], -v[8:9]
	v_lshlrev_b64 v[0:1], 4, v[78:79]
	v_add_co_u32 v0, s0, s1, v0
	v_add_co_ci_u32_e64 v1, s0, s4, v1, s0
	global_load_dwordx4 v[2:5], v[0:1], off
	ds_read_b64 v[0:1], v11 offset:7080
	ds_read_b64 v[12:13], v212 offset:8
	s_waitcnt lgkmcnt(0)
	v_add_f64 v[6:7], v[0:1], v[12:13]
	v_add_f64 v[0:1], v[12:13], -v[0:1]
	s_waitcnt vmcnt(0)
	v_fma_f64 v[8:9], v[16:17], v[4:5], v[14:15]
	v_fma_f64 v[12:13], -v[16:17], v[4:5], v[14:15]
	v_fma_f64 v[14:15], v[6:7], v[4:5], -v[0:1]
	v_fma_f64 v[4:5], v[6:7], v[4:5], v[0:1]
	v_fma_f64 v[0:1], -v[6:7], v[2:3], v[8:9]
	v_fma_f64 v[6:7], v[6:7], v[2:3], v[12:13]
	v_fma_f64 v[8:9], v[16:17], v[2:3], v[14:15]
	;; [unrolled: 1-line block ×3, first 2 shown]
	v_mov_b32_e32 v4, v78
	v_mov_b32_e32 v5, v79
	ds_write_b128 v11, v[6:9] offset:7072
.LBB0_16:
	s_andn2_saveexec_b32 s0, s5
	s_cbranch_execz .LBB0_18
; %bb.17:
	ds_read_b128 v[4:7], v210 offset:3536
	s_waitcnt lgkmcnt(0)
	v_add_f64 v[12:13], v[4:5], v[4:5]
	v_mul_f64 v[14:15], v[6:7], -2.0
	v_mov_b32_e32 v4, 0
	v_mov_b32_e32 v5, 0
	ds_write_b128 v210, v[12:15] offset:3536
.LBB0_18:
	s_or_b32 exec_lo, exec_lo, s0
	v_lshlrev_b64 v[4:5], 4, v[4:5]
	v_add_co_u32 v8, s0, s1, v4
	v_add_co_ci_u32_e64 v9, s0, s4, v5, s0
	s_clause 0x2
	global_load_dwordx4 v[4:7], v[8:9], off offset:544
	global_load_dwordx4 v[12:15], v[8:9], off offset:1088
	;; [unrolled: 1-line block ×3, first 2 shown]
	ds_write_b128 v212, v[0:3]
	v_add_co_u32 v0, s0, 0x800, v8
	v_add_co_ci_u32_e64 v1, s0, 0, v9, s0
	ds_read_b128 v[20:23], v212 offset:544
	ds_read_b128 v[24:27], v11 offset:6528
	v_cmp_gt_u32_e64 s0, 17, v78
	global_load_dwordx4 v[28:31], v[0:1], off offset:128
	s_waitcnt lgkmcnt(0)
	v_add_f64 v[2:3], v[20:21], v[24:25]
	v_add_f64 v[32:33], v[26:27], v[22:23]
	v_add_f64 v[20:21], v[20:21], -v[24:25]
	v_add_f64 v[8:9], v[22:23], -v[26:27]
	s_waitcnt vmcnt(3)
	v_fma_f64 v[22:23], v[20:21], v[6:7], v[2:3]
	v_fma_f64 v[24:25], v[32:33], v[6:7], v[8:9]
	v_fma_f64 v[2:3], -v[20:21], v[6:7], v[2:3]
	v_fma_f64 v[26:27], v[32:33], v[6:7], -v[8:9]
	v_fma_f64 v[6:7], -v[32:33], v[4:5], v[22:23]
	v_fma_f64 v[8:9], v[20:21], v[4:5], v[24:25]
	v_fma_f64 v[2:3], v[32:33], v[4:5], v[2:3]
	;; [unrolled: 1-line block ×3, first 2 shown]
	ds_write_b128 v212, v[6:9] offset:544
	ds_write_b128 v11, v[2:5] offset:6528
	ds_read_b128 v[2:5], v212 offset:1088
	ds_read_b128 v[6:9], v11 offset:5984
	global_load_dwordx4 v[20:23], v[0:1], off offset:672
	s_waitcnt lgkmcnt(0)
	v_add_f64 v[24:25], v[2:3], v[6:7]
	v_add_f64 v[26:27], v[8:9], v[4:5]
	v_add_f64 v[32:33], v[2:3], -v[6:7]
	v_add_f64 v[2:3], v[4:5], -v[8:9]
	s_waitcnt vmcnt(3)
	v_fma_f64 v[4:5], v[32:33], v[14:15], v[24:25]
	v_fma_f64 v[6:7], v[26:27], v[14:15], v[2:3]
	v_fma_f64 v[8:9], -v[32:33], v[14:15], v[24:25]
	v_fma_f64 v[14:15], v[26:27], v[14:15], -v[2:3]
	v_fma_f64 v[2:3], -v[26:27], v[12:13], v[4:5]
	v_fma_f64 v[4:5], v[32:33], v[12:13], v[6:7]
	v_fma_f64 v[6:7], v[26:27], v[12:13], v[8:9]
	v_fma_f64 v[8:9], v[32:33], v[12:13], v[14:15]
	ds_write_b128 v212, v[2:5] offset:1088
	ds_write_b128 v11, v[6:9] offset:5984
	ds_read_b128 v[2:5], v212 offset:1632
	ds_read_b128 v[6:9], v11 offset:5440
	s_waitcnt lgkmcnt(0)
	v_add_f64 v[12:13], v[2:3], v[6:7]
	v_add_f64 v[14:15], v[8:9], v[4:5]
	v_add_f64 v[24:25], v[2:3], -v[6:7]
	v_add_f64 v[2:3], v[4:5], -v[8:9]
	s_waitcnt vmcnt(2)
	v_fma_f64 v[4:5], v[24:25], v[18:19], v[12:13]
	v_fma_f64 v[6:7], v[14:15], v[18:19], v[2:3]
	v_fma_f64 v[8:9], -v[24:25], v[18:19], v[12:13]
	v_fma_f64 v[12:13], v[14:15], v[18:19], -v[2:3]
	v_fma_f64 v[2:3], -v[14:15], v[16:17], v[4:5]
	v_fma_f64 v[4:5], v[24:25], v[16:17], v[6:7]
	v_fma_f64 v[6:7], v[14:15], v[16:17], v[8:9]
	v_fma_f64 v[8:9], v[24:25], v[16:17], v[12:13]
	ds_write_b128 v212, v[2:5] offset:1632
	ds_write_b128 v11, v[6:9] offset:5440
	ds_read_b128 v[2:5], v212 offset:2176
	ds_read_b128 v[6:9], v11 offset:4896
	;; [unrolled: 18-line block ×3, first 2 shown]
	s_waitcnt lgkmcnt(0)
	v_add_f64 v[12:13], v[2:3], v[6:7]
	v_add_f64 v[14:15], v[8:9], v[4:5]
	v_add_f64 v[16:17], v[2:3], -v[6:7]
	v_add_f64 v[2:3], v[4:5], -v[8:9]
	s_waitcnt vmcnt(0)
	v_fma_f64 v[4:5], v[16:17], v[22:23], v[12:13]
	v_fma_f64 v[6:7], v[14:15], v[22:23], v[2:3]
	v_fma_f64 v[8:9], -v[16:17], v[22:23], v[12:13]
	v_fma_f64 v[12:13], v[14:15], v[22:23], -v[2:3]
	v_fma_f64 v[2:3], -v[14:15], v[20:21], v[4:5]
	v_fma_f64 v[4:5], v[16:17], v[20:21], v[6:7]
	v_fma_f64 v[6:7], v[14:15], v[20:21], v[8:9]
	;; [unrolled: 1-line block ×3, first 2 shown]
	ds_write_b128 v212, v[2:5] offset:2720
	ds_write_b128 v11, v[6:9] offset:4352
	s_and_saveexec_b32 s1, s0
	s_cbranch_execz .LBB0_20
; %bb.19:
	global_load_dwordx4 v[0:3], v[0:1], off offset:1216
	ds_read_b128 v[4:7], v212 offset:3264
	ds_read_b128 v[12:15], v11 offset:3808
	s_waitcnt lgkmcnt(0)
	v_add_f64 v[8:9], v[4:5], v[12:13]
	v_add_f64 v[16:17], v[14:15], v[6:7]
	v_add_f64 v[12:13], v[4:5], -v[12:13]
	v_add_f64 v[4:5], v[6:7], -v[14:15]
	s_waitcnt vmcnt(0)
	v_fma_f64 v[6:7], v[12:13], v[2:3], v[8:9]
	v_fma_f64 v[14:15], v[16:17], v[2:3], v[4:5]
	v_fma_f64 v[8:9], -v[12:13], v[2:3], v[8:9]
	v_fma_f64 v[18:19], v[16:17], v[2:3], -v[4:5]
	v_fma_f64 v[2:3], -v[16:17], v[0:1], v[6:7]
	v_fma_f64 v[4:5], v[12:13], v[0:1], v[14:15]
	v_fma_f64 v[6:7], v[16:17], v[0:1], v[8:9]
	;; [unrolled: 1-line block ×3, first 2 shown]
	ds_write_b128 v212, v[2:5] offset:3264
	ds_write_b128 v11, v[6:9] offset:3808
.LBB0_20:
	s_or_b32 exec_lo, exec_lo, s1
	v_add3_u32 v79, 0, v10, v255
	s_waitcnt lgkmcnt(0)
	s_barrier
	buffer_gl0_inv
	s_barrier
	buffer_gl0_inv
	ds_read_b128 v[12:15], v79 offset:6656
	ds_read_b128 v[24:27], v79 offset:416
	;; [unrolled: 1-line block ×3, first 2 shown]
	ds_read_b128 v[8:11], v212
	ds_read_b128 v[32:35], v79 offset:832
	s_mov_b32 s14, 0xeb564b22
	s_mov_b32 s6, 0x923c349f
	;; [unrolled: 1-line block ×4, first 2 shown]
	ds_read_b128 v[36:39], v79 offset:1248
	ds_read_b128 v[20:23], v79 offset:5824
	s_mov_b32 s4, 0x3259b75e
	s_mov_b32 s8, 0xacd6c6b4
	;; [unrolled: 1-line block ×8, first 2 shown]
	ds_read_b128 v[28:31], v79 offset:5408
	ds_read_b128 v[72:75], v79 offset:1664
	s_mov_b32 s16, 0x7faef3
	s_waitcnt lgkmcnt(7)
	v_add_f64 v[82:83], v[26:27], -v[14:15]
	v_add_f64 v[166:167], v[24:25], -v[12:13]
	v_add_f64 v[184:185], v[24:25], v[12:13]
	s_waitcnt lgkmcnt(4)
	v_add_f64 v[142:143], v[34:35], -v[18:19]
	v_add_f64 v[247:248], v[32:33], -v[16:17]
	v_add_f64 v[198:199], v[26:27], v[14:15]
	v_add_f64 v[86:87], v[32:33], v[16:17]
	;; [unrolled: 1-line block ×3, first 2 shown]
	s_waitcnt lgkmcnt(2)
	v_add_f64 v[112:113], v[38:39], -v[22:23]
	v_add_f64 v[88:89], v[36:37], -v[20:21]
	s_mov_b32 s24, 0x910ea3b9
	s_mov_b32 s26, 0x2a9d6da3
	;; [unrolled: 1-line block ×7, first 2 shown]
	v_add_f64 v[90:91], v[36:37], v[20:21]
	v_add_f64 v[118:119], v[38:39], v[22:23]
	s_waitcnt lgkmcnt(0)
	v_add_f64 v[114:115], v[74:75], -v[30:31]
	v_add_f64 v[92:93], v[72:73], -v[28:29]
	ds_read_b128 v[56:59], v79 offset:2080
	ds_read_b128 v[40:43], v79 offset:4992
	v_mul_f64 v[136:137], v[82:83], s[14:15]
	v_mul_f64 v[128:129], v[166:167], s[14:15]
	;; [unrolled: 1-line block ×12, first 2 shown]
	s_mov_b32 s30, 0x5d8e7cdc
	s_mov_b32 s34, 0x7c9e640b
	;; [unrolled: 1-line block ×6, first 2 shown]
	v_add_f64 v[94:95], v[72:73], v[28:29]
	v_add_f64 v[122:123], v[74:75], v[30:31]
	s_waitcnt lgkmcnt(0)
	v_add_f64 v[120:121], v[58:59], -v[42:43]
	v_add_f64 v[96:97], v[56:57], -v[40:41]
	v_fma_f64 v[0:1], v[184:185], s[4:5], v[136:137]
	v_fma_f64 v[2:3], v[198:199], s[4:5], -v[128:129]
	v_fma_f64 v[4:5], v[184:185], s[20:21], v[84:85]
	v_fma_f64 v[6:7], v[198:199], s[20:21], -v[208:209]
	;; [unrolled: 2-line block ×4, first 2 shown]
	v_mul_f64 v[174:175], v[114:115], s[30:31]
	v_mul_f64 v[176:177], v[92:93], s[30:31]
	;; [unrolled: 1-line block ×4, first 2 shown]
	v_fma_f64 v[68:69], v[90:91], s[20:21], v[168:169]
	v_fma_f64 v[70:71], v[118:119], s[20:21], -v[170:171]
	v_fma_f64 v[102:103], v[90:91], s[28:29], v[138:139]
	v_fma_f64 v[104:105], v[118:119], s[28:29], -v[146:147]
	ds_read_b128 v[44:47], v79 offset:4576
	ds_read_b128 v[64:67], v79 offset:2496
	s_mov_b32 s38, 0x370991
	s_mov_b32 s36, 0x2b2883cd
	;; [unrolled: 1-line block ×4, first 2 shown]
	v_add_f64 v[0:1], v[8:9], v[0:1]
	v_add_f64 v[2:3], v[10:11], v[2:3]
	;; [unrolled: 1-line block ×6, first 2 shown]
	v_mul_f64 v[186:187], v[120:121], s[34:35]
	v_mul_f64 v[190:191], v[96:97], s[34:35]
	v_mul_f64 v[164:165], v[120:121], s[8:9]
	v_mul_f64 v[172:173], v[96:97], s[8:9]
	v_fma_f64 v[106:107], v[94:95], s[38:39], v[174:175]
	v_fma_f64 v[108:109], v[122:123], s[38:39], -v[176:177]
	v_fma_f64 v[110:111], v[94:95], s[36:37], v[148:149]
	v_fma_f64 v[144:145], v[122:123], s[36:37], -v[162:163]
	s_mov_b32 s45, 0xbfe0d888
	s_waitcnt lgkmcnt(0)
	v_add_f64 v[126:127], v[66:67], -v[46:47]
	v_add_f64 v[100:101], v[64:65], -v[44:45]
	s_mov_b32 s41, 0x3fefdd0d
	s_mov_b32 s44, s18
	;; [unrolled: 1-line block ×3, first 2 shown]
	v_add_f64 v[140:141], v[66:67], v[46:47]
	s_mov_b32 s42, 0x6c9a05f6
	v_add_f64 v[0:1], v[48:49], v[0:1]
	v_add_f64 v[2:3], v[50:51], v[2:3]
	;; [unrolled: 1-line block ×4, first 2 shown]
	ds_read_b128 v[60:63], v79 offset:2912
	ds_read_b128 v[48:51], v79 offset:4160
	s_mov_b32 s43, 0x3fe9895b
	v_fma_f64 v[158:159], v[98:99], s[36:37], v[186:187]
	v_fma_f64 v[182:183], v[132:133], s[36:37], -v[190:191]
	v_fma_f64 v[188:189], v[98:99], s[16:17], v[164:165]
	v_fma_f64 v[196:197], v[132:133], s[16:17], -v[172:173]
	s_mov_b32 s49, 0xbfd71e95
	s_mov_b32 s48, s30
	;; [unrolled: 1-line block ×5, first 2 shown]
	v_mul_f64 v[194:195], v[126:127], s[44:45]
	v_mul_f64 v[200:201], v[100:101], s[44:45]
	;; [unrolled: 1-line block ×4, first 2 shown]
	s_mov_b32 s50, s42
	s_mov_b32 s33, exec_lo
	v_add_f64 v[0:1], v[68:69], v[0:1]
	v_add_f64 v[2:3], v[70:71], v[2:3]
	;; [unrolled: 1-line block ×5, first 2 shown]
	s_waitcnt lgkmcnt(0)
	v_add_f64 v[134:135], v[62:63], -v[50:51]
	v_add_f64 v[104:105], v[60:61], -v[48:49]
	ds_read_b128 v[68:71], v79 offset:3328
	ds_read_b128 v[52:55], v79 offset:3744
	v_add_f64 v[152:153], v[62:63], v[50:51]
	s_waitcnt lgkmcnt(0)
	s_barrier
	buffer_gl0_inv
	v_fma_f64 v[215:216], v[140:141], s[24:25], -v[200:201]
	v_fma_f64 v[219:220], v[140:141], s[4:5], -v[178:179]
	v_add_f64 v[0:1], v[106:107], v[0:1]
	v_add_f64 v[2:3], v[108:109], v[2:3]
	;; [unrolled: 1-line block ×5, first 2 shown]
	v_add_f64 v[144:145], v[70:71], -v[54:55]
	v_add_f64 v[108:109], v[68:69], -v[52:53]
	v_mul_f64 v[202:203], v[134:135], s[42:43]
	v_mul_f64 v[204:205], v[104:105], s[42:43]
	;; [unrolled: 1-line block ×4, first 2 shown]
	v_fma_f64 v[213:214], v[102:103], s[24:25], v[194:195]
	v_fma_f64 v[217:218], v[102:103], s[4:5], v[160:161]
	v_add_f64 v[110:111], v[68:69], v[52:53]
	v_add_f64 v[0:1], v[158:159], v[0:1]
	;; [unrolled: 1-line block ×6, first 2 shown]
	v_mul_f64 v[196:197], v[144:145], s[26:27]
	v_mul_f64 v[206:207], v[108:109], s[26:27]
	;; [unrolled: 1-line block ×4, first 2 shown]
	v_fma_f64 v[221:222], v[106:107], s[46:47], v[202:203]
	v_fma_f64 v[223:224], v[152:153], s[46:47], -v[204:205]
	v_fma_f64 v[225:226], v[106:107], s[38:39], v[180:181]
	v_fma_f64 v[227:228], v[152:153], s[38:39], -v[192:193]
	v_add_f64 v[0:1], v[213:214], v[0:1]
	v_add_f64 v[2:3], v[215:216], v[2:3]
	;; [unrolled: 1-line block ×4, first 2 shown]
	v_fma_f64 v[213:214], v[110:111], s[28:29], v[196:197]
	v_fma_f64 v[215:216], v[158:159], s[28:29], -v[206:207]
	v_fma_f64 v[217:218], v[110:111], s[46:47], v[182:183]
	v_fma_f64 v[219:220], v[158:159], s[46:47], -v[188:189]
	v_add_f64 v[0:1], v[221:222], v[0:1]
	v_add_f64 v[2:3], v[223:224], v[2:3]
	v_add_f64 v[221:222], v[225:226], v[4:5]
	v_add_f64 v[223:224], v[227:228], v[6:7]
	v_add_f64 v[4:5], v[213:214], v[0:1]
	v_add_f64 v[6:7], v[215:216], v[2:3]
	v_add_f64 v[0:1], v[217:218], v[221:222]
	v_add_f64 v[2:3], v[219:220], v[223:224]
	v_cmpx_gt_u32_e32 26, v78
	s_cbranch_execz .LBB0_22
; %bb.21:
	v_add_f64 v[26:27], v[10:11], v[26:27]
	v_add_f64 v[24:25], v[8:9], v[24:25]
	s_mov_b32 s55, 0x3feca52d
	s_mov_b32 s54, s34
	;; [unrolled: 1-line block ×6, first 2 shown]
	v_mul_f64 v[215:216], v[158:159], s[4:5]
	v_mul_f64 v[217:218], v[144:145], s[40:41]
	;; [unrolled: 1-line block ×14, first 2 shown]
	v_add_f64 v[26:27], v[26:27], v[34:35]
	v_add_f64 v[24:25], v[24:25], v[32:33]
	v_mul_f64 v[32:33], v[198:199], s[28:29]
	v_mul_f64 v[34:35], v[198:199], s[38:39]
	;; [unrolled: 1-line block ×8, first 2 shown]
	v_add_f64 v[26:27], v[26:27], v[38:39]
	v_add_f64 v[24:25], v[24:25], v[36:37]
	;; [unrolled: 1-line block ×4, first 2 shown]
	v_mul_f64 v[72:73], v[122:123], s[4:5]
	v_mul_f64 v[74:75], v[122:123], s[20:21]
	v_add_f64 v[26:27], v[26:27], v[58:59]
	v_add_f64 v[24:25], v[24:25], v[56:57]
	v_mul_f64 v[56:57], v[82:83], s[48:49]
	v_mul_f64 v[58:59], v[82:83], s[56:57]
	v_add_f64 v[26:27], v[26:27], v[66:67]
	v_add_f64 v[24:25], v[24:25], v[64:65]
	v_add_f64 v[26:27], v[26:27], v[62:63]
	v_add_f64 v[24:25], v[24:25], v[60:61]
	v_add_f64 v[26:27], v[26:27], v[70:71]
	v_add_f64 v[24:25], v[24:25], v[68:69]
	v_fma_f64 v[68:69], v[184:185], s[38:39], -v[56:57]
	v_fma_f64 v[56:57], v[184:185], s[38:39], v[56:57]
	v_fma_f64 v[70:71], v[184:185], s[28:29], -v[58:59]
	v_fma_f64 v[58:59], v[184:185], s[28:29], v[58:59]
	v_add_f64 v[26:27], v[26:27], v[54:55]
	v_add_f64 v[24:25], v[24:25], v[52:53]
	v_mul_f64 v[52:53], v[82:83], s[50:51]
	v_mul_f64 v[54:55], v[82:83], s[34:35]
	v_add_f64 v[26:27], v[26:27], v[50:51]
	v_add_f64 v[24:25], v[24:25], v[48:49]
	v_mul_f64 v[50:51], v[82:83], s[44:45]
	v_fma_f64 v[64:65], v[184:185], s[46:47], v[52:53]
	v_fma_f64 v[52:53], v[184:185], s[46:47], -v[52:53]
	v_fma_f64 v[66:67], v[184:185], s[36:37], v[54:55]
	v_mul_f64 v[48:49], v[82:83], s[8:9]
	v_fma_f64 v[54:55], v[184:185], s[36:37], -v[54:55]
	v_mul_f64 v[82:83], v[116:117], s[46:47]
	v_add_f64 v[26:27], v[26:27], v[46:47]
	v_add_f64 v[24:25], v[24:25], v[44:45]
	v_fma_f64 v[62:63], v[184:185], s[24:25], v[50:51]
	v_fma_f64 v[50:51], v[184:185], s[24:25], -v[50:51]
	v_fma_f64 v[44:45], v[166:167], s[56:57], v[32:33]
	v_fma_f64 v[32:33], v[166:167], s[26:27], v[32:33]
	;; [unrolled: 1-line block ×5, first 2 shown]
	v_fma_f64 v[48:49], v[184:185], s[16:17], -v[48:49]
	v_add_f64 v[54:55], v[8:9], v[54:55]
	v_add_f64 v[26:27], v[26:27], v[42:43]
	;; [unrolled: 1-line block ×8, first 2 shown]
	v_mul_f64 v[28:29], v[198:199], s[46:47]
	v_mul_f64 v[30:31], v[198:199], s[36:37]
	v_add_f64 v[22:23], v[26:27], v[22:23]
	v_add_f64 v[20:21], v[24:25], v[20:21]
	v_mul_f64 v[26:27], v[198:199], s[24:25]
	v_fma_f64 v[40:41], v[166:167], s[42:43], v[28:29]
	v_fma_f64 v[42:43], v[166:167], s[54:55], v[30:31]
	v_mul_f64 v[24:25], v[198:199], s[16:17]
	v_fma_f64 v[28:29], v[166:167], s[50:51], v[28:29]
	v_fma_f64 v[30:31], v[166:167], s[34:35], v[30:31]
	v_add_f64 v[18:19], v[22:23], v[18:19]
	v_add_f64 v[16:17], v[20:21], v[16:17]
	v_fma_f64 v[38:39], v[166:167], s[18:19], v[26:27]
	v_fma_f64 v[26:27], v[166:167], s[44:45], v[26:27]
	v_mul_f64 v[20:21], v[198:199], s[4:5]
	v_fma_f64 v[36:37], v[166:167], s[52:53], v[24:25]
	v_fma_f64 v[24:25], v[166:167], s[8:9], v[24:25]
	v_mul_f64 v[22:23], v[184:185], s[4:5]
	v_add_f64 v[14:15], v[18:19], v[14:15]
	v_add_f64 v[12:13], v[16:17], v[12:13]
	v_mul_f64 v[16:17], v[198:199], s[20:21]
	v_mul_f64 v[18:19], v[184:185], s[20:21]
	v_add_f64 v[20:21], v[128:129], v[20:21]
	v_add_f64 v[36:37], v[10:11], v[36:37]
	;; [unrolled: 1-line block ×4, first 2 shown]
	v_add_f64 v[22:23], v[22:23], -v[136:137]
	v_mul_f64 v[198:199], v[140:141], s[46:47]
	v_mul_f64 v[184:185], v[126:127], s[50:51]
	;; [unrolled: 1-line block ×4, first 2 shown]
	buffer_store_dword v12, off, s[60:63], 0 offset:4 ; 4-byte Folded Spill
	buffer_store_dword v13, off, s[60:63], 0 offset:8 ; 4-byte Folded Spill
	;; [unrolled: 1-line block ×4, first 2 shown]
	v_add_f64 v[12:13], v[10:11], v[26:27]
	v_add_f64 v[16:17], v[208:209], v[16:17]
	;; [unrolled: 1-line block ×3, first 2 shown]
	v_add_f64 v[18:19], v[18:19], -v[84:85]
	v_mov_b32_e32 v14, v146
	v_mov_b32_e32 v15, v147
	v_mul_f64 v[146:147], v[114:115], s[8:9]
	v_mul_f64 v[84:85], v[144:145], s[44:45]
	buffer_store_dword v12, off, s[60:63], 0 offset:124 ; 4-byte Folded Spill
	buffer_store_dword v13, off, s[60:63], 0 offset:128 ; 4-byte Folded Spill
	v_add_f64 v[12:13], v[8:9], v[50:51]
	v_add_f64 v[50:51], v[8:9], v[22:23]
	;; [unrolled: 1-line block ×3, first 2 shown]
	v_mul_f64 v[18:19], v[142:143], s[30:31]
	buffer_store_dword v12, off, s[60:63], 0 offset:116 ; 4-byte Folded Spill
	buffer_store_dword v13, off, s[60:63], 0 offset:120 ; 4-byte Folded Spill
	v_add_f64 v[12:13], v[10:11], v[40:41]
	v_add_f64 v[40:41], v[10:11], v[20:21]
	v_mul_f64 v[20:21], v[118:119], s[24:25]
	buffer_store_dword v12, off, s[60:63], 0 offset:108 ; 4-byte Folded Spill
	buffer_store_dword v13, off, s[60:63], 0 offset:112 ; 4-byte Folded Spill
	v_add_f64 v[12:13], v[8:9], v[64:65]
	v_add_f64 v[64:65], v[10:11], v[28:29]
	;; [unrolled: 1-line block ×3, first 2 shown]
	v_fma_f64 v[22:23], v[88:89], s[18:19], v[20:21]
	v_fma_f64 v[20:21], v[88:89], s[44:45], v[20:21]
	buffer_store_dword v12, off, s[60:63], 0 offset:100 ; 4-byte Folded Spill
	buffer_store_dword v13, off, s[60:63], 0 offset:104 ; 4-byte Folded Spill
	v_add_f64 v[12:13], v[8:9], v[52:53]
	v_add_f64 v[52:53], v[10:11], v[16:17]
	v_mul_f64 v[16:17], v[116:117], s[38:39]
	buffer_store_dword v12, off, s[60:63], 0 offset:188 ; 4-byte Folded Spill
	buffer_store_dword v13, off, s[60:63], 0 offset:192 ; 4-byte Folded Spill
	v_add_f64 v[12:13], v[10:11], v[42:43]
	v_add_f64 v[42:43], v[10:11], v[30:31]
	;; [unrolled: 1-line block ×3, first 2 shown]
	v_mul_f64 v[68:69], v[134:135], s[54:55]
	buffer_store_dword v12, off, s[60:63], 0 offset:92 ; 4-byte Folded Spill
	buffer_store_dword v13, off, s[60:63], 0 offset:96 ; 4-byte Folded Spill
	v_add_f64 v[12:13], v[8:9], v[66:67]
	v_mul_f64 v[66:67], v[152:153], s[36:37]
	buffer_store_dword v12, off, s[60:63], 0 offset:84 ; 4-byte Folded Spill
	buffer_store_dword v13, off, s[60:63], 0 offset:88 ; 4-byte Folded Spill
	v_add_f64 v[12:13], v[10:11], v[32:33]
	v_add_f64 v[10:11], v[10:11], v[34:35]
	;; [unrolled: 1-line block ×3, first 2 shown]
	v_mul_f64 v[70:71], v[144:145], s[30:31]
	buffer_store_dword v12, off, s[60:63], 0 offset:68 ; 4-byte Folded Spill
	buffer_store_dword v13, off, s[60:63], 0 offset:72 ; 4-byte Folded Spill
	;; [unrolled: 1-line block ×4, first 2 shown]
	v_add_f64 v[10:11], v[8:9], v[56:57]
	v_add_f64 v[8:9], v[8:9], v[58:59]
	v_mov_b32_e32 v12, v160
	v_mov_b32_e32 v13, v161
	v_mul_f64 v[160:161], v[142:143], s[50:51]
	buffer_store_dword v10, off, s[60:63], 0 offset:36 ; 4-byte Folded Spill
	buffer_store_dword v11, off, s[60:63], 0 offset:40 ; 4-byte Folded Spill
	buffer_store_dword v8, off, s[60:63], 0 offset:76 ; 4-byte Folded Spill
	buffer_store_dword v9, off, s[60:63], 0 offset:80 ; 4-byte Folded Spill
	v_fma_f64 v[8:9], v[247:248], s[48:49], v[16:17]
	v_fma_f64 v[10:11], v[86:87], s[38:39], v[18:19]
	;; [unrolled: 1-line block ×3, first 2 shown]
	v_fma_f64 v[18:19], v[86:87], s[38:39], -v[18:19]
	v_add_f64 v[8:9], v[8:9], v[36:37]
	v_add_f64 v[10:11], v[10:11], v[60:61]
	;; [unrolled: 1-line block ×4, first 2 shown]
	v_mul_f64 v[48:49], v[116:117], s[36:37]
	v_add_f64 v[8:9], v[22:23], v[8:9]
	v_mul_f64 v[22:23], v[112:113], s[44:45]
	v_add_f64 v[16:17], v[20:21], v[16:17]
	v_fma_f64 v[34:35], v[90:91], s[24:25], v[22:23]
	v_fma_f64 v[20:21], v[90:91], s[24:25], -v[22:23]
	v_fma_f64 v[22:23], v[110:111], s[4:5], -v[217:218]
	v_add_f64 v[10:11], v[34:35], v[10:11]
	v_mul_f64 v[34:35], v[122:123], s[28:29]
	v_add_f64 v[18:19], v[20:21], v[18:19]
	v_fma_f64 v[36:37], v[92:93], s[56:57], v[34:35]
	v_fma_f64 v[20:21], v[92:93], s[26:27], v[34:35]
	v_fma_f64 v[34:35], v[86:87], s[46:47], -v[160:161]
	v_add_f64 v[8:9], v[36:37], v[8:9]
	v_mul_f64 v[36:37], v[114:115], s[26:27]
	v_add_f64 v[16:17], v[20:21], v[16:17]
	v_add_f64 v[34:35], v[34:35], v[54:55]
	v_mov_b32_e32 v54, v176
	v_mov_b32_e32 v55, v177
	v_mul_f64 v[176:177], v[118:119], s[16:17]
	v_fma_f64 v[44:45], v[94:95], s[28:29], v[36:37]
	v_fma_f64 v[20:21], v[94:95], s[28:29], -v[36:37]
	v_fma_f64 v[36:37], v[88:89], s[52:53], v[176:177]
	v_add_f64 v[10:11], v[44:45], v[10:11]
	v_mul_f64 v[44:45], v[132:133], s[46:47]
	v_add_f64 v[18:19], v[20:21], v[18:19]
	v_fma_f64 v[46:47], v[96:97], s[42:43], v[44:45]
	v_fma_f64 v[20:21], v[96:97], s[50:51], v[44:45]
	v_mov_b32_e32 v44, v154
	v_mov_b32_e32 v45, v155
	v_mul_f64 v[154:155], v[140:141], s[20:21]
	v_add_f64 v[8:9], v[46:47], v[8:9]
	v_mul_f64 v[46:47], v[120:121], s[50:51]
	v_add_f64 v[16:17], v[20:21], v[16:17]
	v_fma_f64 v[56:57], v[98:99], s[46:47], v[46:47]
	v_fma_f64 v[20:21], v[98:99], s[46:47], -v[46:47]
	v_mov_b32_e32 v46, v168
	v_mov_b32_e32 v47, v169
	v_mul_f64 v[168:169], v[158:159], s[38:39]
	v_add_f64 v[10:11], v[56:57], v[10:11]
	v_mul_f64 v[56:57], v[140:141], s[36:37]
	v_add_f64 v[18:19], v[20:21], v[18:19]
	v_fma_f64 v[58:59], v[100:101], s[34:35], v[56:57]
	v_fma_f64 v[20:21], v[100:101], s[54:55], v[56:57]
	v_mul_f64 v[56:57], v[142:143], s[54:55]
	v_add_f64 v[8:9], v[58:59], v[8:9]
	v_mul_f64 v[58:59], v[126:127], s[54:55]
	v_add_f64 v[16:17], v[20:21], v[16:17]
	v_fma_f64 v[60:61], v[102:103], s[36:37], v[58:59]
	v_fma_f64 v[20:21], v[102:103], s[36:37], -v[58:59]
	v_mul_f64 v[58:59], v[118:119], s[4:5]
	v_add_f64 v[10:11], v[60:61], v[10:11]
	v_mul_f64 v[60:61], v[152:153], s[20:21]
	v_add_f64 v[18:19], v[20:21], v[18:19]
	v_fma_f64 v[24:25], v[88:89], s[40:41], v[58:59]
	v_fma_f64 v[208:209], v[104:105], s[22:23], v[60:61]
	;; [unrolled: 1-line block ×3, first 2 shown]
	v_mul_f64 v[60:61], v[112:113], s[14:15]
	v_add_f64 v[8:9], v[208:209], v[8:9]
	v_mul_f64 v[208:209], v[134:135], s[6:7]
	v_add_f64 v[16:17], v[20:21], v[16:17]
	v_mul_f64 v[134:135], v[134:135], s[8:9]
	v_fma_f64 v[213:214], v[106:107], s[20:21], v[208:209]
	v_fma_f64 v[20:21], v[106:107], s[20:21], -v[208:209]
	v_mul_f64 v[208:209], v[114:115], s[42:43]
	v_add_f64 v[213:214], v[213:214], v[10:11]
	v_fma_f64 v[10:11], v[108:109], s[14:15], v[215:216]
	v_add_f64 v[20:21], v[20:21], v[18:19]
	v_fma_f64 v[18:19], v[108:109], s[40:41], v[215:216]
	v_mul_f64 v[215:216], v[120:121], s[48:49]
	v_add_f64 v[10:11], v[10:11], v[8:9]
	v_fma_f64 v[8:9], v[110:111], s[4:5], v[217:218]
	v_mul_f64 v[217:218], v[140:141], s[16:17]
	v_add_f64 v[8:9], v[8:9], v[213:214]
	v_mul_f64 v[213:214], v[132:133], s[38:39]
	buffer_store_dword v8, off, s[60:63], 0 offset:20 ; 4-byte Folded Spill
	buffer_store_dword v9, off, s[60:63], 0 offset:24 ; 4-byte Folded Spill
	;; [unrolled: 1-line block ×4, first 2 shown]
	v_add_f64 v[10:11], v[18:19], v[16:17]
	v_add_f64 v[8:9], v[22:23], v[20:21]
	v_fma_f64 v[20:21], v[247:248], s[34:35], v[48:49]
	v_fma_f64 v[22:23], v[86:87], s[36:37], v[56:57]
	v_mul_f64 v[16:17], v[144:145], s[8:9]
	v_mov_b32_e32 v18, v202
	v_mov_b32_e32 v19, v203
	v_mul_f64 v[202:203], v[112:113], s[50:51]
	buffer_store_dword v8, off, s[60:63], 0 offset:52 ; 4-byte Folded Spill
	buffer_store_dword v9, off, s[60:63], 0 offset:56 ; 4-byte Folded Spill
	;; [unrolled: 1-line block ×4, first 2 shown]
	v_mul_f64 v[8:9], v[116:117], s[28:29]
	v_add_f64 v[20:21], v[20:21], v[38:39]
	v_add_f64 v[22:23], v[22:23], v[62:63]
	v_mul_f64 v[62:63], v[122:123], s[46:47]
	v_mul_f64 v[10:11], v[142:143], s[14:15]
	v_mov_b32_e32 v38, v156
	v_mov_b32_e32 v39, v157
	buffer_store_dword v8, off, s[60:63], 0 offset:132 ; 4-byte Folded Spill
	buffer_store_dword v9, off, s[60:63], 0 offset:136 ; 4-byte Folded Spill
	v_add_f64 v[20:21], v[24:25], v[20:21]
	v_fma_f64 v[24:25], v[90:91], s[4:5], v[60:61]
	v_mul_f64 v[156:157], v[126:127], s[22:23]
	v_fma_f64 v[48:49], v[247:248], s[54:55], v[48:49]
	v_fma_f64 v[56:57], v[86:87], s[36:37], -v[56:57]
	v_mul_f64 v[126:127], v[126:127], s[56:57]
	v_mul_f64 v[144:145], v[144:145], s[54:55]
	v_add_f64 v[22:23], v[24:25], v[22:23]
	v_fma_f64 v[24:25], v[92:93], s[50:51], v[62:63]
	v_add_f64 v[20:21], v[24:25], v[20:21]
	v_fma_f64 v[24:25], v[94:95], s[46:47], v[208:209]
	;; [unrolled: 2-line block ×11, first 2 shown]
	v_mul_f64 v[8:9], v[142:143], s[56:57]
	buffer_store_dword v8, off, s[60:63], 0 offset:140 ; 4-byte Folded Spill
	buffer_store_dword v9, off, s[60:63], 0 offset:144 ; 4-byte Folded Spill
	v_add_f64 v[24:25], v[24:25], v[26:27]
	v_fma_f64 v[26:27], v[86:87], s[28:29], -v[8:9]
	v_mul_f64 v[8:9], v[118:119], s[36:37]
	buffer_store_dword v8, off, s[60:63], 0 offset:148 ; 4-byte Folded Spill
	buffer_store_dword v9, off, s[60:63], 0 offset:152 ; 4-byte Folded Spill
	v_add_f64 v[26:27], v[26:27], v[30:31]
	v_fma_f64 v[30:31], v[88:89], s[34:35], v[8:9]
	v_mul_f64 v[8:9], v[112:113], s[34:35]
	v_mul_f64 v[112:113], v[112:113], s[48:49]
	buffer_store_dword v8, off, s[60:63], 0 offset:156 ; 4-byte Folded Spill
	buffer_store_dword v9, off, s[60:63], 0 offset:160 ; 4-byte Folded Spill
	v_add_f64 v[24:25], v[30:31], v[24:25]
	v_fma_f64 v[30:31], v[90:91], s[36:37], -v[8:9]
	v_mul_f64 v[8:9], v[114:115], s[14:15]
	v_mul_f64 v[114:115], v[114:115], s[44:45]
	buffer_store_dword v8, off, s[60:63], 0 offset:164 ; 4-byte Folded Spill
	buffer_store_dword v9, off, s[60:63], 0 offset:168 ; 4-byte Folded Spill
	v_add_f64 v[26:27], v[30:31], v[26:27]
	v_fma_f64 v[30:31], v[92:93], s[14:15], v[72:73]
	v_fma_f64 v[72:73], v[92:93], s[40:41], v[72:73]
	v_add_f64 v[24:25], v[30:31], v[24:25]
	v_fma_f64 v[30:31], v[94:95], s[4:5], -v[8:9]
	v_mul_f64 v[8:9], v[132:133], s[20:21]
	buffer_store_dword v8, off, s[60:63], 0 offset:172 ; 4-byte Folded Spill
	buffer_store_dword v9, off, s[60:63], 0 offset:176 ; 4-byte Folded Spill
	v_add_f64 v[26:27], v[30:31], v[26:27]
	v_fma_f64 v[30:31], v[96:97], s[6:7], v[8:9]
	v_mul_f64 v[8:9], v[120:121], s[6:7]
	buffer_store_dword v8, off, s[60:63], 0 offset:180 ; 4-byte Folded Spill
	buffer_store_dword v9, off, s[60:63], 0 offset:184 ; 4-byte Folded Spill
	v_add_f64 v[24:25], v[30:31], v[24:25]
	buffer_store_dword v210, off, s[60:63], 0 ; 4-byte Folded Spill
	v_mul_f64 v[210:211], v[132:133], s[24:25]
	v_mul_f64 v[120:121], v[120:121], s[40:41]
	v_fma_f64 v[30:31], v[98:99], s[20:21], -v[8:9]
	v_mul_f64 v[8:9], v[122:123], s[16:17]
	v_add_f64 v[26:27], v[30:31], v[26:27]
	v_fma_f64 v[30:31], v[100:101], s[50:51], v[198:199]
	v_add_f64 v[24:25], v[30:31], v[24:25]
	v_fma_f64 v[30:31], v[102:103], s[46:47], -v[184:185]
	v_add_f64 v[26:27], v[30:31], v[26:27]
	v_fma_f64 v[30:31], v[104:105], s[44:45], v[249:250]
	v_add_f64 v[24:25], v[30:31], v[24:25]
	v_fma_f64 v[30:31], v[106:107], s[24:25], -v[251:252]
	;; [unrolled: 4-line block ×10, first 2 shown]
	v_add_f64 v[28:29], v[28:29], v[32:33]
	v_fma_f64 v[32:33], v[247:248], s[50:51], v[82:83]
	v_add_f64 v[32:33], v[32:33], v[42:43]
	v_mul_f64 v[42:43], v[86:87], s[16:17]
	v_add_f64 v[32:33], v[36:37], v[32:33]
	v_fma_f64 v[36:37], v[90:91], s[16:17], -v[229:230]
	v_add_f64 v[42:43], v[42:43], -v[44:45]
	v_mul_f64 v[44:45], v[122:123], s[38:39]
	v_add_f64 v[34:35], v[36:37], v[34:35]
	v_fma_f64 v[36:37], v[92:93], s[22:23], v[74:75]
	v_add_f64 v[44:45], v[54:55], v[44:45]
	v_add_f64 v[42:43], v[42:43], v[50:51]
	v_mul_f64 v[54:55], v[140:141], s[4:5]
	v_add_f64 v[32:33], v[36:37], v[32:33]
	v_fma_f64 v[36:37], v[94:95], s[20:21], -v[237:238]
	v_add_f64 v[54:55], v[178:179], v[54:55]
	v_add_f64 v[34:35], v[36:37], v[34:35]
	v_fma_f64 v[36:37], v[96:97], s[26:27], v[231:232]
	v_add_f64 v[32:33], v[36:37], v[32:33]
	v_fma_f64 v[36:37], v[100:101], s[48:49], v[241:242]
	v_add_f64 v[32:33], v[36:37], v[32:33]
	v_fma_f64 v[36:37], v[98:99], s[28:29], -v[233:234]
	v_add_f64 v[34:35], v[36:37], v[34:35]
	v_fma_f64 v[36:37], v[102:103], s[38:39], -v[235:236]
	v_add_f64 v[34:35], v[36:37], v[34:35]
	v_fma_f64 v[36:37], v[104:105], s[14:15], v[239:240]
	v_add_f64 v[32:33], v[36:37], v[32:33]
	v_fma_f64 v[36:37], v[106:107], s[4:5], -v[245:246]
	v_add_f64 v[36:37], v[36:37], v[34:35]
	v_fma_f64 v[34:35], v[108:109], s[44:45], v[243:244]
	v_add_f64 v[34:35], v[34:35], v[32:33]
	v_fma_f64 v[32:33], v[110:111], s[24:25], -v[84:85]
	v_add_f64 v[32:33], v[32:33], v[36:37]
	v_mul_f64 v[36:37], v[116:117], s[16:17]
	v_add_f64 v[36:37], v[38:39], v[36:37]
	v_mul_f64 v[38:39], v[118:119], s[20:21]
	v_add_f64 v[36:37], v[36:37], v[40:41]
	v_add_f64 v[38:39], v[170:171], v[38:39]
	;; [unrolled: 1-line block ×3, first 2 shown]
	v_mul_f64 v[38:39], v[90:91], s[20:21]
	v_add_f64 v[36:37], v[44:45], v[36:37]
	v_add_f64 v[38:39], v[38:39], -v[46:47]
	v_mul_f64 v[46:47], v[132:133], s[36:37]
	v_mul_f64 v[44:45], v[94:95], s[38:39]
	v_add_f64 v[38:39], v[38:39], v[42:43]
	v_add_f64 v[46:47], v[190:191], v[46:47]
	v_add_f64 v[44:45], v[44:45], -v[174:175]
	v_mul_f64 v[42:43], v[140:141], s[24:25]
	v_add_f64 v[36:37], v[46:47], v[36:37]
	v_mul_f64 v[46:47], v[98:99], s[36:37]
	v_add_f64 v[42:43], v[200:201], v[42:43]
	v_add_f64 v[38:39], v[44:45], v[38:39]
	v_mul_f64 v[44:45], v[152:153], s[46:47]
	v_add_f64 v[46:47], v[46:47], -v[186:187]
	v_add_f64 v[36:37], v[42:43], v[36:37]
	v_mul_f64 v[42:43], v[102:103], s[24:25]
	v_add_f64 v[44:45], v[204:205], v[44:45]
	v_add_f64 v[38:39], v[46:47], v[38:39]
	v_mul_f64 v[46:47], v[158:159], s[28:29]
	v_add_f64 v[42:43], v[42:43], -v[194:195]
	;; [unrolled: 6-line block ×3, first 2 shown]
	v_add_f64 v[42:43], v[42:43], -v[196:197]
	v_add_f64 v[44:45], v[44:45], v[38:39]
	v_add_f64 v[38:39], v[46:47], v[36:37]
	v_mul_f64 v[46:47], v[132:133], s[16:17]
	v_add_f64 v[36:37], v[42:43], v[44:45]
	v_mul_f64 v[42:43], v[116:117], s[24:25]
	v_mul_f64 v[44:45], v[118:119], s[28:29]
	v_add_f64 v[46:47], v[172:173], v[46:47]
	v_add_f64 v[42:43], v[130:131], v[42:43]
	;; [unrolled: 1-line block ×4, first 2 shown]
	v_mul_f64 v[42:43], v[122:123], s[36:37]
	v_mul_f64 v[52:53], v[132:133], s[4:5]
	v_add_f64 v[40:41], v[44:45], v[40:41]
	v_add_f64 v[42:43], v[162:163], v[42:43]
	v_mul_f64 v[44:45], v[86:87], s[24:25]
	v_fma_f64 v[132:133], v[96:97], s[40:41], v[52:53]
	v_fma_f64 v[52:53], v[96:97], s[14:15], v[52:53]
	v_add_f64 v[40:41], v[42:43], v[40:41]
	v_add_f64 v[44:45], v[44:45], -v[124:125]
	v_mul_f64 v[42:43], v[90:91], s[28:29]
	v_add_f64 v[40:41], v[46:47], v[40:41]
	v_add_f64 v[44:45], v[44:45], v[166:167]
	v_add_f64 v[42:43], v[42:43], -v[138:139]
	v_mul_f64 v[166:167], v[94:95], s[36:37]
	v_mul_f64 v[46:47], v[152:153], s[38:39]
	v_add_f64 v[40:41], v[54:55], v[40:41]
	v_mul_f64 v[54:55], v[102:103], s[4:5]
	v_add_f64 v[42:43], v[42:43], v[44:45]
	v_add_f64 v[166:167], v[166:167], -v[148:149]
	v_mul_f64 v[44:45], v[98:99], s[16:17]
	v_add_f64 v[46:47], v[192:193], v[46:47]
	v_add_f64 v[54:55], v[54:55], -v[12:13]
	s_clause 0x1
	buffer_load_dword v12, off, s[60:63], 0 offset:188
	buffer_load_dword v13, off, s[60:63], 0 offset:192
	v_add_f64 v[42:43], v[166:167], v[42:43]
	v_add_f64 v[44:45], v[44:45], -v[164:165]
	v_add_f64 v[40:41], v[46:47], v[40:41]
	v_mul_f64 v[46:47], v[106:107], s[38:39]
	v_add_f64 v[42:43], v[44:45], v[42:43]
	v_mul_f64 v[44:45], v[158:159], s[46:47]
	v_add_f64 v[46:47], v[46:47], -v[180:181]
	v_mul_f64 v[158:159], v[158:159], s[36:37]
	v_add_f64 v[42:43], v[54:55], v[42:43]
	v_mul_f64 v[54:55], v[110:111], s[46:47]
	v_add_f64 v[44:45], v[188:189], v[44:45]
	v_add_f64 v[46:47], v[46:47], v[42:43]
	v_add_f64 v[54:55], v[54:55], -v[182:183]
	v_add_f64 v[42:43], v[44:45], v[40:41]
	v_add_f64 v[40:41], v[54:55], v[46:47]
	v_mul_f64 v[54:55], v[116:117], s[20:21]
	v_mul_f64 v[116:117], v[118:119], s[38:39]
	;; [unrolled: 1-line block ×4, first 2 shown]
	v_fma_f64 v[44:45], v[247:248], s[22:23], v[54:55]
	v_fma_f64 v[46:47], v[88:89], s[48:49], v[116:117]
	;; [unrolled: 1-line block ×3, first 2 shown]
	v_add_f64 v[44:45], v[44:45], v[64:65]
	v_fma_f64 v[64:65], v[88:89], s[42:43], v[136:137]
	v_add_f64 v[44:45], v[46:47], v[44:45]
	v_fma_f64 v[46:47], v[92:93], s[44:45], v[118:119]
	v_add_f64 v[44:45], v[46:47], v[44:45]
	v_fma_f64 v[46:47], v[86:87], s[20:21], -v[122:123]
	v_add_f64 v[44:45], v[132:133], v[44:45]
	v_fma_f64 v[132:133], v[90:91], s[38:39], -v[112:113]
	s_waitcnt vmcnt(0)
	v_add_f64 v[46:47], v[46:47], v[12:13]
	s_clause 0x1
	buffer_load_dword v12, off, s[60:63], 0 offset:124
	buffer_load_dword v13, off, s[60:63], 0 offset:128
	v_add_f64 v[46:47], v[132:133], v[46:47]
	v_mul_f64 v[132:133], v[140:141], s[28:29]
	v_fma_f64 v[140:141], v[100:101], s[56:57], v[132:133]
	v_add_f64 v[44:45], v[140:141], v[44:45]
	v_fma_f64 v[140:141], v[94:95], s[24:25], -v[114:115]
	v_add_f64 v[46:47], v[140:141], v[46:47]
	v_mul_f64 v[140:141], v[152:153], s[16:17]
	v_fma_f64 v[152:153], v[104:105], s[8:9], v[140:141]
	v_add_f64 v[44:45], v[152:153], v[44:45]
	v_fma_f64 v[152:153], v[98:99], s[4:5], -v[120:121]
	v_add_f64 v[46:47], v[152:153], v[46:47]
	v_fma_f64 v[152:153], v[102:103], s[28:29], -v[126:127]
	;; [unrolled: 2-line block ×3, first 2 shown]
	v_add_f64 v[152:153], v[152:153], v[46:47]
	v_fma_f64 v[46:47], v[108:109], s[54:55], v[158:159]
	v_add_f64 v[46:47], v[46:47], v[44:45]
	v_fma_f64 v[44:45], v[110:111], s[36:37], -v[144:145]
	v_add_f64 v[44:45], v[44:45], v[152:153]
	s_waitcnt vmcnt(0)
	v_add_f64 v[48:49], v[48:49], v[12:13]
	s_clause 0x1
	buffer_load_dword v12, off, s[60:63], 0 offset:116
	buffer_load_dword v13, off, s[60:63], 0 offset:120
	s_waitcnt vmcnt(0)
	v_add_f64 v[50:51], v[56:57], v[12:13]
	s_clause 0x1
	buffer_load_dword v12, off, s[60:63], 0 offset:108
	buffer_load_dword v13, off, s[60:63], 0 offset:112
	v_fma_f64 v[56:57], v[88:89], s[14:15], v[58:59]
	v_fma_f64 v[58:59], v[110:111], s[20:21], -v[227:228]
	v_add_f64 v[48:49], v[56:57], v[48:49]
	v_fma_f64 v[56:57], v[90:91], s[4:5], -v[60:61]
	v_fma_f64 v[60:61], v[88:89], s[8:9], v[176:177]
	v_add_f64 v[50:51], v[56:57], v[50:51]
	v_fma_f64 v[56:57], v[92:93], s[42:43], v[62:63]
	v_fma_f64 v[62:63], v[110:111], s[24:25], v[84:85]
	v_add_f64 v[48:49], v[56:57], v[48:49]
	v_fma_f64 v[56:57], v[94:95], s[46:47], -v[208:209]
	v_add_f64 v[50:51], v[56:57], v[50:51]
	v_fma_f64 v[56:57], v[96:97], s[48:49], v[213:214]
	v_add_f64 v[48:49], v[56:57], v[48:49]
	v_fma_f64 v[56:57], v[98:99], s[38:39], -v[215:216]
	v_add_f64 v[50:51], v[56:57], v[50:51]
	;; [unrolled: 4-line block ×4, first 2 shown]
	v_fma_f64 v[50:51], v[108:109], s[6:7], v[225:226]
	v_add_f64 v[50:51], v[50:51], v[48:49]
	v_add_f64 v[48:49], v[58:59], v[56:57]
	v_fma_f64 v[56:57], v[86:87], s[20:21], v[122:123]
	v_fma_f64 v[58:59], v[88:89], s[30:31], v[116:117]
	s_waitcnt vmcnt(0)
	v_add_f64 v[54:55], v[54:55], v[12:13]
	s_clause 0x1
	buffer_load_dword v12, off, s[60:63], 0 offset:100
	buffer_load_dword v13, off, s[60:63], 0 offset:104
	v_add_f64 v[54:55], v[58:59], v[54:55]
	v_fma_f64 v[58:59], v[90:91], s[38:39], v[112:113]
	s_waitcnt vmcnt(0)
	v_add_f64 v[56:57], v[56:57], v[12:13]
	s_clause 0x1
	buffer_load_dword v12, off, s[60:63], 0 offset:92
	buffer_load_dword v13, off, s[60:63], 0 offset:96
	v_add_f64 v[56:57], v[58:59], v[56:57]
	v_fma_f64 v[58:59], v[92:93], s[18:19], v[118:119]
	v_add_f64 v[54:55], v[58:59], v[54:55]
	v_fma_f64 v[58:59], v[110:111], s[36:37], v[144:145]
	;; [unrolled: 2-line block ×9, first 2 shown]
	v_add_f64 v[54:55], v[54:55], v[52:53]
	v_add_f64 v[52:53], v[58:59], v[56:57]
	v_fma_f64 v[56:57], v[247:248], s[42:43], v[82:83]
	v_fma_f64 v[58:59], v[86:87], s[46:47], v[160:161]
	s_waitcnt vmcnt(0)
	v_add_f64 v[56:57], v[56:57], v[12:13]
	s_clause 0x1
	buffer_load_dword v12, off, s[60:63], 0 offset:84
	buffer_load_dword v13, off, s[60:63], 0 offset:88
	v_add_f64 v[56:57], v[60:61], v[56:57]
	v_fma_f64 v[60:61], v[90:91], s[16:17], v[229:230]
	s_waitcnt vmcnt(0)
	v_add_f64 v[58:59], v[58:59], v[12:13]
	s_clause 0x1
	buffer_load_dword v12, off, s[60:63], 0 offset:68
	buffer_load_dword v13, off, s[60:63], 0 offset:72
	v_add_f64 v[58:59], v[60:61], v[58:59]
	v_fma_f64 v[60:61], v[92:93], s[6:7], v[74:75]
	v_mul_u32_u24_e32 v74, 0x110, v78
	v_add_f64 v[56:57], v[60:61], v[56:57]
	v_fma_f64 v[60:61], v[94:95], s[20:21], v[237:238]
	v_add_f64 v[58:59], v[60:61], v[58:59]
	v_fma_f64 v[60:61], v[96:97], s[56:57], v[231:232]
	;; [unrolled: 2-line block ×8, first 2 shown]
	v_add_f64 v[58:59], v[58:59], v[56:57]
	v_add_f64 v[56:57], v[62:63], v[60:61]
	v_fma_f64 v[62:63], v[86:87], s[4:5], v[10:11]
	s_clause 0x1
	buffer_load_dword v10, off, s[60:63], 0 offset:76
	buffer_load_dword v11, off, s[60:63], 0 offset:80
	v_fma_f64 v[60:61], v[247:248], s[40:41], v[128:129]
	s_waitcnt vmcnt(2)
	v_add_f64 v[60:61], v[60:61], v[12:13]
	v_add_f64 v[60:61], v[64:65], v[60:61]
	v_fma_f64 v[64:65], v[90:91], s[46:47], v[202:203]
	s_waitcnt vmcnt(0)
	v_add_f64 v[62:63], v[62:63], v[10:11]
	v_add_f64 v[62:63], v[64:65], v[62:63]
	v_fma_f64 v[64:65], v[92:93], s[52:53], v[8:9]
	v_add_f64 v[60:61], v[64:65], v[60:61]
	v_fma_f64 v[64:65], v[94:95], s[16:17], v[146:147]
	;; [unrolled: 2-line block ×3, first 2 shown]
	s_clause 0x2
	buffer_load_dword v210, off, s[60:63], 0
	buffer_load_dword v8, off, s[60:63], 0 offset:132
	buffer_load_dword v9, off, s[60:63], 0 offset:136
	v_add_f64 v[60:61], v[64:65], v[60:61]
	v_fma_f64 v[64:65], v[98:99], s[24:25], v[150:151]
	v_add_f64 v[62:63], v[64:65], v[62:63]
	v_fma_f64 v[64:65], v[100:101], s[6:7], v[154:155]
	;; [unrolled: 2-line block ×4, first 2 shown]
	v_fma_f64 v[66:67], v[110:111], s[38:39], v[70:71]
	v_add_f64 v[60:61], v[64:65], v[60:61]
	v_fma_f64 v[64:65], v[106:107], s[36:37], v[68:69]
	v_add_f64 v[64:65], v[64:65], v[62:63]
	;; [unrolled: 2-line block ×3, first 2 shown]
	v_add_f64 v[60:61], v[66:67], v[64:65]
	s_waitcnt vmcnt(0)
	v_fma_f64 v[64:65], v[247:248], s[26:27], v[8:9]
	s_clause 0x1
	buffer_load_dword v8, off, s[60:63], 0 offset:140
	buffer_load_dword v9, off, s[60:63], 0 offset:144
	s_waitcnt vmcnt(0)
	v_fma_f64 v[66:67], v[86:87], s[28:29], v[8:9]
	s_clause 0x1
	buffer_load_dword v8, off, s[60:63], 0 offset:148
	buffer_load_dword v9, off, s[60:63], 0 offset:152
	;; [unrolled: 5-line block ×3, first 2 shown]
	s_waitcnt vmcnt(0)
	v_add_f64 v[64:65], v[64:65], v[8:9]
	s_clause 0x1
	buffer_load_dword v8, off, s[60:63], 0 offset:156
	buffer_load_dword v9, off, s[60:63], 0 offset:160
	v_add_f64 v[64:65], v[68:69], v[64:65]
	v_add_f64 v[64:65], v[72:73], v[64:65]
	s_waitcnt vmcnt(0)
	v_fma_f64 v[70:71], v[90:91], s[36:37], v[8:9]
	s_clause 0x1
	buffer_load_dword v8, off, s[60:63], 0 offset:36
	buffer_load_dword v9, off, s[60:63], 0 offset:40
	s_waitcnt vmcnt(0)
	v_add_f64 v[66:67], v[66:67], v[8:9]
	s_clause 0x1
	buffer_load_dword v8, off, s[60:63], 0 offset:164
	buffer_load_dword v9, off, s[60:63], 0 offset:168
	v_add_f64 v[66:67], v[70:71], v[66:67]
	s_waitcnt vmcnt(0)
	v_fma_f64 v[68:69], v[94:95], s[4:5], v[8:9]
	s_clause 0x1
	buffer_load_dword v8, off, s[60:63], 0 offset:172
	buffer_load_dword v9, off, s[60:63], 0 offset:176
	v_add_f64 v[66:67], v[68:69], v[66:67]
	v_fma_f64 v[68:69], v[100:101], s[42:43], v[198:199]
	s_waitcnt vmcnt(0)
	v_fma_f64 v[70:71], v[96:97], s[22:23], v[8:9]
	s_clause 0x1
	buffer_load_dword v8, off, s[60:63], 0 offset:180
	buffer_load_dword v9, off, s[60:63], 0 offset:184
	v_add_f64 v[64:65], v[70:71], v[64:65]
	v_fma_f64 v[70:71], v[102:103], s[46:47], v[184:185]
	v_add_f64 v[64:65], v[68:69], v[64:65]
	v_fma_f64 v[68:69], v[106:107], s[24:25], v[251:252]
	s_waitcnt vmcnt(0)
	v_fma_f64 v[72:73], v[98:99], s[20:21], v[8:9]
	s_clause 0x3
	buffer_load_dword v8, off, s[60:63], 0 offset:4
	buffer_load_dword v9, off, s[60:63], 0 offset:8
	;; [unrolled: 1-line block ×4, first 2 shown]
	v_add_f64 v[66:67], v[72:73], v[66:67]
	v_fma_f64 v[72:73], v[104:105], s[18:19], v[249:250]
	v_add_f64 v[66:67], v[70:71], v[66:67]
	v_fma_f64 v[70:71], v[108:109], s[52:53], v[253:254]
	;; [unrolled: 2-line block ×3, first 2 shown]
	v_add_f64 v[68:69], v[68:69], v[66:67]
	v_add_f64 v[66:67], v[70:71], v[64:65]
	;; [unrolled: 1-line block ×3, first 2 shown]
	v_add3_u32 v68, 0, v74, v255
	s_waitcnt vmcnt(0)
	ds_write_b128 v68, v[8:11]
	ds_write_b128 v68, v[24:27] offset:16
	ds_write_b128 v68, v[28:31] offset:32
	;; [unrolled: 1-line block ×7, first 2 shown]
	s_clause 0x3
	buffer_load_dword v8, off, s[60:63], 0 offset:52
	buffer_load_dword v9, off, s[60:63], 0 offset:56
	;; [unrolled: 1-line block ×4, first 2 shown]
	s_waitcnt vmcnt(0)
	ds_write_b128 v68, v[8:11] offset:128
	s_clause 0x3
	buffer_load_dword v8, off, s[60:63], 0 offset:20
	buffer_load_dword v9, off, s[60:63], 0 offset:24
	buffer_load_dword v10, off, s[60:63], 0 offset:28
	buffer_load_dword v11, off, s[60:63], 0 offset:32
	s_waitcnt vmcnt(0)
	ds_write_b128 v68, v[8:11] offset:144
	ds_write_b128 v68, v[20:23] offset:160
	ds_write_b128 v68, v[52:55] offset:176
	ds_write_b128 v68, v[0:3] offset:192
	ds_write_b128 v68, v[4:7] offset:208
	ds_write_b128 v68, v[56:59] offset:224
	ds_write_b128 v68, v[60:63] offset:240
	ds_write_b128 v68, v[64:67] offset:256
.LBB0_22:
	s_or_b32 exec_lo, exec_lo, s33
	s_waitcnt lgkmcnt(0)
	s_waitcnt_vscnt null, 0x0
	s_barrier
	buffer_gl0_inv
	ds_read_b128 v[8:11], v212
	ds_read_b128 v[12:15], v79 offset:544
	ds_read_b128 v[36:39], v79 offset:3536
	;; [unrolled: 1-line block ×11, first 2 shown]
	s_and_saveexec_b32 s1, s0
	s_cbranch_execz .LBB0_24
; %bb.23:
	ds_read_b128 v[0:3], v79 offset:3264
	ds_read_b128 v[4:7], v79 offset:6800
.LBB0_24:
	s_or_b32 exec_lo, exec_lo, s1
	v_add_nc_u16 v60, v78, 34
	v_subrev_nc_u32_e32 v56, 17, v78
	v_mov_b32_e32 v74, 0
	v_add_nc_u16 v61, v78, 0x44
	v_add_nc_u16 v62, v78, 0x66
	v_and_b32_e32 v57, 0xff, v60
	v_cndmask_b32_e64 v73, v56, v78, s0
	v_add_nc_u16 v63, v78, 0x88
	v_and_b32_e32 v65, 0xff, v61
	v_add_nc_u16 v64, v78, 0xaa
	v_mul_lo_u16 v58, 0xf1, v57
	v_lshlrev_b64 v[56:57], 4, v[73:74]
	v_and_b32_e32 v66, 0xff, v64
	v_lshrrev_b16 v100, 12, v58
	v_add_co_u32 v58, s1, s12, v56
	v_and_b32_e32 v56, 0xff, v62
	v_add_co_ci_u32_e64 v59, s1, s13, v57, s1
	v_mul_lo_u16 v57, 0xf1, v65
	v_and_b32_e32 v65, 0xff, v63
	v_mul_lo_u16 v56, 0xf1, v56
	v_mul_lo_u16 v67, v100, 17
	v_cmp_lt_u32_e64 s1, 16, v78
	v_lshrrev_b16 v101, 12, v57
	v_mul_lo_u16 v57, 0xf1, v65
	v_mul_lo_u16 v65, 0xf1, v66
	v_lshrrev_b16 v102, 12, v56
	v_sub_nc_u16 v60, v60, v67
	v_mul_lo_u16 v66, v101, 17
	v_lshrrev_b16 v103, 12, v57
	v_lshrrev_b16 v104, 12, v65
	v_mov_b32_e32 v56, 4
	v_mul_lo_u16 v57, v102, 17
	v_sub_nc_u16 v61, v61, v66
	v_mul_lo_u16 v65, v103, 17
	v_mul_lo_u16 v66, v104, 17
	v_lshlrev_b32_sdwa v105, v56, v60 dst_sel:DWORD dst_unused:UNUSED_PAD src0_sel:DWORD src1_sel:BYTE_0
	v_sub_nc_u16 v62, v62, v57
	v_lshlrev_b32_sdwa v106, v56, v61 dst_sel:DWORD dst_unused:UNUSED_PAD src0_sel:DWORD src1_sel:BYTE_0
	v_sub_nc_u16 v65, v63, v65
	v_sub_nc_u16 v69, v64, v66
	global_load_dwordx4 v[57:60], v[58:59], off
	v_lshlrev_b32_sdwa v107, v56, v62 dst_sel:DWORD dst_unused:UNUSED_PAD src0_sel:DWORD src1_sel:BYTE_0
	global_load_dwordx4 v[61:64], v105, s[12:13]
	v_lshlrev_b32_sdwa v108, v56, v65 dst_sel:DWORD dst_unused:UNUSED_PAD src0_sel:DWORD src1_sel:BYTE_0
	global_load_dwordx4 v[65:68], v106, s[12:13]
	v_lshlrev_b32_sdwa v109, v56, v69 dst_sel:DWORD dst_unused:UNUSED_PAD src0_sel:DWORD src1_sel:BYTE_0
	s_clause 0x2
	global_load_dwordx4 v[69:72], v107, s[12:13]
	global_load_dwordx4 v[82:85], v108, s[12:13]
	;; [unrolled: 1-line block ×3, first 2 shown]
	s_waitcnt vmcnt(0) lgkmcnt(0)
	s_barrier
	buffer_gl0_inv
	v_mul_f64 v[74:75], v[38:39], v[59:60]
	v_mul_f64 v[59:60], v[36:37], v[59:60]
	;; [unrolled: 1-line block ×12, first 2 shown]
	v_fma_f64 v[36:37], v[36:37], v[57:58], -v[74:75]
	v_fma_f64 v[38:39], v[38:39], v[57:58], v[59:60]
	v_fma_f64 v[57:58], v[32:33], v[61:62], -v[90:91]
	v_fma_f64 v[59:60], v[34:35], v[61:62], v[63:64]
	;; [unrolled: 2-line block ×6, first 2 shown]
	v_cndmask_b32_e64 v32, 0, 0x220, s1
	v_lshlrev_b32_e32 v70, 4, v73
	v_add_nc_u32_e32 v69, 0, v32
	v_add_f64 v[32:33], v[8:9], -v[36:37]
	v_add_f64 v[34:35], v[10:11], -v[38:39]
	;; [unrolled: 1-line block ×12, first 2 shown]
	v_and_b32_e32 v58, 0xffff, v100
	v_and_b32_e32 v59, 0xffff, v101
	;; [unrolled: 1-line block ×5, first 2 shown]
	v_mad_u32_u24 v58, 0x220, v58, 0
	v_mad_u32_u24 v59, 0x220, v59, 0
	v_add3_u32 v57, v69, v70, v255
	v_mad_u32_u24 v60, 0x220, v60, 0
	v_mad_u32_u24 v61, 0x220, v61, 0
	v_fma_f64 v[8:9], v[8:9], 2.0, -v[32:33]
	v_fma_f64 v[10:11], v[10:11], 2.0, -v[34:35]
	;; [unrolled: 1-line block ×12, first 2 shown]
	v_mad_u32_u24 v62, 0x220, v62, 0
	v_add3_u32 v58, v58, v105, v255
	v_add3_u32 v59, v59, v106, v255
	;; [unrolled: 1-line block ×5, first 2 shown]
	ds_write_b128 v57, v[32:35] offset:272
	ds_write_b128 v57, v[8:11]
	ds_write_b128 v58, v[36:39] offset:272
	ds_write_b128 v58, v[12:15]
	ds_write_b128 v59, v[16:19]
	ds_write_b128 v59, v[40:43] offset:272
	ds_write_b128 v60, v[20:23]
	ds_write_b128 v60, v[44:47] offset:272
	;; [unrolled: 2-line block ×4, first 2 shown]
	s_and_saveexec_b32 s1, s0
	s_cbranch_execz .LBB0_26
; %bb.25:
	v_add_nc_u16 v8, v78, 0xcc
	v_and_b32_e32 v9, 0xff, v8
	v_mul_lo_u16 v9, 0xf1, v9
	v_lshrrev_b16 v9, 12, v9
	v_mul_lo_u16 v9, v9, 17
	v_sub_nc_u16 v8, v8, v9
	v_lshlrev_b32_sdwa v14, v56, v8 dst_sel:DWORD dst_unused:UNUSED_PAD src0_sel:DWORD src1_sel:BYTE_0
	global_load_dwordx4 v[8:11], v14, s[12:13]
	s_waitcnt vmcnt(0)
	v_mul_f64 v[12:13], v[4:5], v[10:11]
	v_mul_f64 v[10:11], v[6:7], v[10:11]
	v_fma_f64 v[6:7], v[6:7], v[8:9], v[12:13]
	v_fma_f64 v[4:5], v[4:5], v[8:9], -v[10:11]
	v_add3_u32 v8, 0, v14, v255
	v_add_f64 v[6:7], v[2:3], -v[6:7]
	v_add_f64 v[4:5], v[0:1], -v[4:5]
	v_fma_f64 v[2:3], v[2:3], 2.0, -v[6:7]
	v_fma_f64 v[0:1], v[0:1], 2.0, -v[4:5]
	ds_write_b128 v8, v[0:3] offset:6528
	ds_write_b128 v8, v[4:7] offset:6800
.LBB0_26:
	s_or_b32 exec_lo, exec_lo, s1
	v_mul_u32_u24_e32 v0, 12, v78
	s_waitcnt lgkmcnt(0)
	s_barrier
	buffer_gl0_inv
	s_mov_b32 s22, 0x42a4c3d2
	v_lshlrev_b32_e32 v4, 4, v0
	s_mov_b32 s24, 0x66966769
	s_mov_b32 s16, 0x2ef20147
	;; [unrolled: 1-line block ×4, first 2 shown]
	s_clause 0xb
	global_load_dwordx4 v[0:3], v4, s[12:13] offset:272
	global_load_dwordx4 v[44:47], v4, s[12:13] offset:448
	;; [unrolled: 1-line block ×12, first 2 shown]
	ds_read_b128 v[48:51], v79 offset:544
	ds_read_b128 v[52:55], v79 offset:6528
	ds_read_b128 v[64:67], v212
	ds_read_b128 v[56:59], v79 offset:1088
	s_mov_b32 s21, 0xbfddbe06
	s_mov_b32 s20, 0x4267c47c
	;; [unrolled: 1-line block ×25, first 2 shown]
	s_waitcnt vmcnt(11) lgkmcnt(3)
	v_mul_f64 v[60:61], v[50:51], v[2:3]
	v_mul_f64 v[2:3], v[48:49], v[2:3]
	s_waitcnt vmcnt(10) lgkmcnt(2)
	v_mul_f64 v[68:69], v[54:55], v[46:47]
	v_mul_f64 v[62:63], v[52:53], v[46:47]
	v_fma_f64 v[70:71], v[48:49], v[0:1], -v[60:61]
	ds_read_b128 v[46:49], v79 offset:1632
	s_waitcnt vmcnt(9) lgkmcnt(1)
	v_mul_f64 v[60:61], v[58:59], v[42:43]
	v_fma_f64 v[72:73], v[50:51], v[0:1], v[2:3]
	v_fma_f64 v[2:3], v[52:53], v[44:45], -v[68:69]
	ds_read_b128 v[50:53], v79 offset:5984
	v_mul_f64 v[74:75], v[56:57], v[42:43]
	v_fma_f64 v[0:1], v[54:55], v[44:45], v[62:63]
	s_waitcnt vmcnt(8) lgkmcnt(1)
	v_mul_f64 v[44:45], v[48:49], v[34:35]
	v_mul_f64 v[34:35], v[46:47], v[34:35]
	v_fma_f64 v[42:43], v[56:57], v[40:41], -v[60:61]
	ds_read_b128 v[54:57], v79 offset:5440
	s_waitcnt vmcnt(7) lgkmcnt(1)
	v_mul_f64 v[62:63], v[52:53], v[38:39]
	v_mul_f64 v[68:69], v[50:51], v[38:39]
	v_fma_f64 v[40:41], v[58:59], v[40:41], v[74:75]
	v_add_f64 v[94:95], v[72:73], v[0:1]
	v_fma_f64 v[38:39], v[46:47], v[32:33], -v[44:45]
	v_fma_f64 v[44:45], v[48:49], v[32:33], v[34:35]
	ds_read_b128 v[46:49], v79 offset:2176
	ds_read_b128 v[58:61], v79 offset:2720
	v_fma_f64 v[32:33], v[50:51], v[36:37], -v[62:63]
	v_fma_f64 v[34:35], v[52:53], v[36:37], v[68:69]
	s_waitcnt vmcnt(5) lgkmcnt(2)
	v_mul_f64 v[52:53], v[56:57], v[30:31]
	v_mul_f64 v[62:63], v[54:55], v[30:31]
	s_waitcnt lgkmcnt(1)
	v_mul_f64 v[36:37], v[48:49], v[26:27]
	v_mul_f64 v[50:51], v[46:47], v[26:27]
	s_waitcnt vmcnt(4) lgkmcnt(0)
	v_mul_f64 v[68:69], v[58:59], v[18:19]
	v_add_f64 v[120:121], v[42:43], -v[32:33]
	v_add_f64 v[118:119], v[40:41], -v[34:35]
	v_add_f64 v[122:123], v[40:41], v[34:35]
	v_fma_f64 v[26:27], v[46:47], v[24:25], -v[36:37]
	v_mul_f64 v[36:37], v[60:61], v[18:19]
	v_fma_f64 v[30:31], v[48:49], v[24:25], v[50:51]
	ds_read_b128 v[46:49], v79 offset:4896
	v_fma_f64 v[18:19], v[54:55], v[28:29], -v[52:53]
	ds_read_b128 v[50:53], v79 offset:4352
	v_fma_f64 v[24:25], v[56:57], v[28:29], v[62:63]
	v_fma_f64 v[28:29], v[60:61], v[16:17], v[68:69]
	v_mul_f64 v[174:175], v[118:119], s[26:27]
	v_mul_f64 v[192:193], v[118:119], s[30:31]
	v_mul_f64 v[211:212], v[118:119], s[28:29]
	v_mul_f64 v[213:214], v[120:121], s[28:29]
	s_waitcnt vmcnt(3) lgkmcnt(1)
	v_mul_f64 v[62:63], v[48:49], v[22:23]
	v_mul_f64 v[74:75], v[46:47], v[22:23]
	v_fma_f64 v[22:23], v[58:59], v[16:17], -v[36:37]
	ds_read_b128 v[54:57], v79 offset:3264
	ds_read_b128 v[58:61], v79 offset:3808
	v_add_f64 v[126:127], v[38:39], v[18:19]
	v_add_f64 v[124:125], v[44:45], -v[24:25]
	v_add_f64 v[128:129], v[38:39], -v[18:19]
	v_add_f64 v[130:131], v[44:45], v[24:25]
	s_waitcnt vmcnt(0) lgkmcnt(0)
	s_barrier
	buffer_gl0_inv
	v_mul_f64 v[36:37], v[56:57], v[14:15]
	v_mul_f64 v[14:15], v[54:55], v[14:15]
	v_fma_f64 v[16:17], v[46:47], v[20:21], -v[62:63]
	v_fma_f64 v[20:21], v[48:49], v[20:21], v[74:75]
	v_mul_f64 v[46:47], v[52:53], v[10:11]
	v_mul_f64 v[48:49], v[50:51], v[10:11]
	;; [unrolled: 1-line block ×5, first 2 shown]
	v_fma_f64 v[10:11], v[54:55], v[12:13], -v[36:37]
	v_fma_f64 v[12:13], v[56:57], v[12:13], v[14:15]
	v_add_f64 v[36:37], v[72:73], -v[0:1]
	v_mul_f64 v[14:15], v[60:61], v[6:7]
	v_mul_f64 v[54:55], v[58:59], v[6:7]
	v_fma_f64 v[6:7], v[50:51], v[8:9], -v[46:47]
	v_fma_f64 v[8:9], v[52:53], v[8:9], v[48:49]
	v_add_f64 v[46:47], v[70:71], v[2:3]
	v_add_f64 v[132:133], v[30:31], -v[20:21]
	v_add_f64 v[134:135], v[26:27], v[16:17]
	v_add_f64 v[136:137], v[26:27], -v[16:17]
	v_add_f64 v[138:139], v[30:31], v[20:21]
	v_mul_f64 v[48:49], v[36:37], s[20:21]
	v_mul_f64 v[50:51], v[36:37], s[22:23]
	;; [unrolled: 1-line block ×3, first 2 shown]
	v_fma_f64 v[14:15], v[58:59], v[4:5], -v[14:15]
	v_mul_f64 v[56:57], v[36:37], s[16:17]
	v_fma_f64 v[4:5], v[60:61], v[4:5], v[54:55]
	v_mul_f64 v[54:55], v[36:37], s[18:19]
	v_mul_f64 v[36:37], v[36:37], s[26:27]
	v_add_f64 v[140:141], v[28:29], -v[8:9]
	v_add_f64 v[142:143], v[22:23], v[6:7]
	v_add_f64 v[146:147], v[28:29], v[8:9]
	v_mul_f64 v[164:165], v[136:137], s[30:31]
	v_mul_f64 v[198:199], v[132:133], s[24:25]
	;; [unrolled: 1-line block ×3, first 2 shown]
	v_fma_f64 v[58:59], v[46:47], s[0:1], -v[48:49]
	v_fma_f64 v[48:49], v[46:47], s[0:1], v[48:49]
	v_fma_f64 v[60:61], v[46:47], s[4:5], -v[50:51]
	v_fma_f64 v[50:51], v[46:47], s[4:5], v[50:51]
	;; [unrolled: 2-line block ×3, first 2 shown]
	v_fma_f64 v[68:69], v[46:47], s[8:9], -v[56:57]
	v_fma_f64 v[84:85], v[46:47], s[14:15], -v[36:37]
	v_fma_f64 v[86:87], v[46:47], s[14:15], v[36:37]
	v_add_f64 v[36:37], v[70:71], -v[2:3]
	v_fma_f64 v[56:57], v[46:47], s[8:9], v[56:57]
	v_fma_f64 v[74:75], v[46:47], s[6:7], -v[54:55]
	v_fma_f64 v[82:83], v[46:47], s[6:7], v[54:55]
	v_add_f64 v[152:153], v[10:11], v[14:15]
	v_add_f64 v[158:159], v[12:13], v[4:5]
	v_mul_f64 v[166:167], v[140:141], s[28:29]
	v_mul_f64 v[184:185], v[140:141], s[22:23]
	v_add_f64 v[110:111], v[64:65], v[60:61]
	v_add_f64 v[50:51], v[64:65], v[50:51]
	;; [unrolled: 1-line block ×7, first 2 shown]
	v_mul_f64 v[46:47], v[36:37], s[20:21]
	v_mul_f64 v[54:55], v[36:37], s[22:23]
	;; [unrolled: 1-line block ×6, first 2 shown]
	v_add_f64 v[56:57], v[64:65], v[56:57]
	v_add_f64 v[74:75], v[64:65], v[74:75]
	;; [unrolled: 1-line block ×3, first 2 shown]
	v_mul_f64 v[82:83], v[118:119], s[22:23]
	s_mov_b32 s21, 0x3fddbe06
	v_mul_f64 v[180:181], v[132:133], s[20:21]
	v_mul_f64 v[182:183], v[136:137], s[20:21]
	;; [unrolled: 1-line block ×5, first 2 shown]
	v_fma_f64 v[96:97], v[94:95], s[0:1], v[46:47]
	v_fma_f64 v[98:99], v[94:95], s[0:1], -v[46:47]
	v_fma_f64 v[100:101], v[94:95], s[4:5], v[54:55]
	v_fma_f64 v[54:55], v[94:95], s[4:5], -v[54:55]
	;; [unrolled: 2-line block ×6, first 2 shown]
	v_add_f64 v[36:37], v[64:65], v[70:71]
	v_add_f64 v[46:47], v[66:67], v[72:73]
	;; [unrolled: 1-line block ×19, first 2 shown]
	v_fma_f64 v[46:47], v[126:127], s[0:1], v[194:195]
	v_fma_f64 v[84:85], v[64:65], s[4:5], -v[82:83]
	v_fma_f64 v[82:83], v[64:65], s[4:5], v[82:83]
	v_add_f64 v[36:37], v[36:37], v[38:39]
	v_add_f64 v[38:39], v[40:41], v[44:45]
	v_fma_f64 v[44:45], v[126:127], s[8:9], v[176:177]
	v_add_f64 v[70:71], v[84:85], v[70:71]
	v_mul_f64 v[84:85], v[120:121], s[22:23]
	v_add_f64 v[82:83], v[82:83], v[96:97]
	v_add_f64 v[26:27], v[36:37], v[26:27]
	;; [unrolled: 1-line block ×3, first 2 shown]
	v_fma_f64 v[36:37], v[122:123], s[12:13], -v[213:214]
	v_fma_f64 v[86:87], v[122:123], s[4:5], v[84:85]
	v_fma_f64 v[84:85], v[122:123], s[4:5], -v[84:85]
	v_add_f64 v[36:37], v[36:37], v[62:63]
	v_add_f64 v[72:73], v[86:87], v[72:73]
	v_mul_f64 v[86:87], v[124:125], s[24:25]
	v_add_f64 v[84:85], v[84:85], v[98:99]
	v_fma_f64 v[98:99], v[126:127], s[0:1], -v[194:195]
	v_fma_f64 v[88:89], v[126:127], s[12:13], -v[86:87]
	v_fma_f64 v[86:87], v[126:127], s[12:13], v[86:87]
	v_add_f64 v[70:71], v[88:89], v[70:71]
	v_mul_f64 v[88:89], v[128:129], s[24:25]
	v_add_f64 v[82:83], v[86:87], v[82:83]
	s_mov_b32 s25, 0x3fea55e2
	s_mov_b32 s24, s22
	v_fma_f64 v[90:91], v[130:131], s[12:13], v[88:89]
	v_fma_f64 v[86:87], v[130:131], s[12:13], -v[88:89]
	v_add_f64 v[72:73], v[90:91], v[72:73]
	v_mul_f64 v[90:91], v[132:133], s[16:17]
	v_add_f64 v[84:85], v[86:87], v[84:85]
	v_fma_f64 v[92:93], v[134:135], s[8:9], -v[90:91]
	v_fma_f64 v[86:87], v[134:135], s[8:9], v[90:91]
	v_add_f64 v[70:71], v[92:93], v[70:71]
	v_mul_f64 v[92:93], v[136:137], s[16:17]
	v_add_f64 v[82:83], v[86:87], v[82:83]
	v_fma_f64 v[94:95], v[138:139], s[8:9], v[92:93]
	v_fma_f64 v[86:87], v[138:139], s[8:9], -v[92:93]
	v_add_f64 v[72:73], v[94:95], v[72:73]
	v_mul_f64 v[94:95], v[140:141], s[18:19]
	v_add_f64 v[84:85], v[86:87], v[84:85]
	v_fma_f64 v[144:145], v[142:143], s[6:7], -v[94:95]
	v_fma_f64 v[86:87], v[142:143], s[6:7], v[94:95]
	v_fma_f64 v[94:95], v[126:127], s[8:9], -v[176:177]
	v_add_f64 v[70:71], v[144:145], v[70:71]
	v_add_f64 v[144:145], v[22:23], -v[6:7]
	v_add_f64 v[82:83], v[86:87], v[82:83]
	v_add_f64 v[22:23], v[26:27], v[22:23]
	;; [unrolled: 1-line block ×3, first 2 shown]
	v_fma_f64 v[30:31], v[64:65], s[14:15], v[174:175]
	v_mul_f64 v[148:149], v[144:145], s[18:19]
	v_mul_f64 v[168:169], v[144:145], s[28:29]
	;; [unrolled: 1-line block ×4, first 2 shown]
	v_add_f64 v[30:31], v[30:31], v[52:53]
	v_fma_f64 v[150:151], v[146:147], s[6:7], v[148:149]
	v_fma_f64 v[86:87], v[146:147], s[6:7], -v[148:149]
	v_mul_f64 v[148:149], v[118:119], s[16:17]
	v_mul_f64 v[118:119], v[118:119], s[20:21]
	v_fma_f64 v[62:63], v[146:147], s[0:1], -v[223:224]
	v_add_f64 v[72:73], v[150:151], v[72:73]
	v_add_f64 v[150:151], v[12:13], -v[4:5]
	v_add_f64 v[84:85], v[86:87], v[84:85]
	v_add_f64 v[12:13], v[26:27], v[12:13]
	v_fma_f64 v[26:27], v[64:65], s[6:7], v[192:193]
	v_fma_f64 v[28:29], v[64:65], s[8:9], v[148:149]
	v_mul_f64 v[154:155], v[150:151], s[26:27]
	v_mul_f64 v[170:171], v[150:151], s[20:21]
	;; [unrolled: 1-line block ×5, first 2 shown]
	v_add_f64 v[4:5], v[12:13], v[4:5]
	v_add_f64 v[26:27], v[26:27], v[56:57]
	;; [unrolled: 1-line block ×3, first 2 shown]
	v_fma_f64 v[50:51], v[134:135], s[0:1], v[180:181]
	v_fma_f64 v[56:57], v[138:139], s[6:7], -v[164:165]
	v_fma_f64 v[156:157], v[152:153], s[14:15], -v[154:155]
	v_fma_f64 v[86:87], v[152:153], s[14:15], v[154:155]
	v_mul_f64 v[154:155], v[124:125], s[26:27]
	v_add_f64 v[4:5], v[4:5], v[8:9]
	v_add_f64 v[26:27], v[46:47], v[26:27]
	v_fma_f64 v[46:47], v[146:147], s[12:13], -v[168:169]
	v_add_f64 v[70:71], v[156:157], v[70:71]
	v_add_f64 v[156:157], v[10:11], -v[14:15]
	v_add_f64 v[82:83], v[86:87], v[82:83]
	v_fma_f64 v[86:87], v[64:65], s[8:9], -v[148:149]
	v_fma_f64 v[90:91], v[126:127], s[14:15], -v[154:155]
	v_add_f64 v[10:11], v[22:23], v[10:11]
	v_fma_f64 v[22:23], v[64:65], s[12:13], v[211:212]
	v_add_f64 v[4:5], v[4:5], v[20:21]
	v_fma_f64 v[20:21], v[142:143], s[12:13], v[166:167]
	v_mul_f64 v[160:161], v[156:157], s[26:27]
	v_mul_f64 v[172:173], v[156:157], s[20:21]
	v_add_f64 v[86:87], v[86:87], v[110:111]
	v_mul_f64 v[110:111], v[120:121], s[16:17]
	v_mul_f64 v[190:191], v[156:157], s[18:19]
	v_mul_f64 v[208:209], v[156:157], s[24:25]
	v_add_f64 v[10:11], v[10:11], v[14:15]
	v_add_f64 v[22:23], v[22:23], v[60:61]
	v_fma_f64 v[14:15], v[126:127], s[14:15], v[154:155]
	v_fma_f64 v[60:61], v[146:147], s[4:5], -v[186:187]
	v_add_f64 v[4:5], v[4:5], v[24:25]
	v_fma_f64 v[24:25], v[152:153], s[4:5], v[206:207]
	v_fma_f64 v[88:89], v[158:159], s[14:15], -v[160:161]
	v_fma_f64 v[162:163], v[158:159], s[14:15], v[160:161]
	v_mul_f64 v[160:161], v[128:129], s[26:27]
	v_add_f64 v[86:87], v[90:91], v[86:87]
	v_fma_f64 v[42:43], v[122:123], s[8:9], -v[110:111]
	v_add_f64 v[6:7], v[10:11], v[6:7]
	v_fma_f64 v[10:11], v[134:135], s[12:13], v[198:199]
	v_add_f64 v[14:15], v[14:15], v[28:29]
	v_add_f64 v[28:29], v[44:45], v[30:31]
	;; [unrolled: 1-line block ×3, first 2 shown]
	v_fma_f64 v[88:89], v[122:123], s[8:9], v[110:111]
	v_add_f64 v[72:73], v[162:163], v[72:73]
	v_fma_f64 v[90:91], v[130:131], s[14:15], v[160:161]
	v_mul_f64 v[162:163], v[132:133], s[30:31]
	v_fma_f64 v[110:111], v[130:131], s[0:1], -v[196:197]
	v_add_f64 v[42:43], v[42:43], v[48:49]
	v_add_f64 v[6:7], v[6:7], v[16:17]
	;; [unrolled: 1-line block ×4, first 2 shown]
	v_fma_f64 v[50:51], v[158:159], s[4:5], -v[208:209]
	v_add_f64 v[88:89], v[88:89], v[100:101]
	v_fma_f64 v[48:49], v[134:135], s[6:7], v[162:163]
	v_add_f64 v[6:7], v[6:7], v[18:19]
	v_fma_f64 v[18:19], v[152:153], s[8:9], v[225:226]
	v_add_f64 v[88:89], v[90:91], v[88:89]
	v_fma_f64 v[90:91], v[134:135], s[6:7], -v[162:163]
	v_add_f64 v[14:15], v[48:49], v[14:15]
	v_add_f64 v[86:87], v[90:91], v[86:87]
	v_fma_f64 v[90:91], v[138:139], s[6:7], v[164:165]
	v_add_f64 v[14:15], v[20:21], v[14:15]
	v_add_f64 v[88:89], v[90:91], v[88:89]
	v_fma_f64 v[90:91], v[142:143], s[12:13], -v[166:167]
	v_add_f64 v[86:87], v[90:91], v[86:87]
	v_fma_f64 v[90:91], v[146:147], s[12:13], v[168:169]
	v_add_f64 v[88:89], v[90:91], v[88:89]
	v_fma_f64 v[90:91], v[152:153], s[0:1], -v[170:171]
	v_add_f64 v[86:87], v[90:91], v[86:87]
	v_fma_f64 v[90:91], v[158:159], s[0:1], v[172:173]
	v_add_f64 v[88:89], v[90:91], v[88:89]
	v_fma_f64 v[90:91], v[64:65], s[14:15], -v[174:175]
	v_add_f64 v[90:91], v[90:91], v[112:113]
	v_mul_f64 v[112:113], v[120:121], s[26:27]
	s_mov_b32 s27, 0x3fcea1e5
	v_mul_f64 v[202:203], v[140:141], s[26:27]
	v_mul_f64 v[204:205], v[144:145], s[26:27]
	;; [unrolled: 1-line block ×4, first 2 shown]
	v_add_f64 v[90:91], v[94:95], v[90:91]
	v_fma_f64 v[92:93], v[122:123], s[14:15], v[112:113]
	v_fma_f64 v[94:95], v[130:131], s[8:9], v[178:179]
	v_fma_f64 v[40:41], v[122:123], s[14:15], -v[112:113]
	v_fma_f64 v[16:17], v[142:143], s[14:15], v[202:203]
	v_fma_f64 v[44:45], v[146:147], s[14:15], -v[204:205]
	;; [unrolled: 2-line block ×3, first 2 shown]
	v_add_f64 v[92:93], v[92:93], v[102:103]
	v_add_f64 v[40:41], v[40:41], v[54:55]
	v_fma_f64 v[54:55], v[138:139], s[12:13], -v[200:201]
	v_add_f64 v[10:11], v[16:17], v[10:11]
	v_add_f64 v[92:93], v[94:95], v[92:93]
	v_fma_f64 v[94:95], v[134:135], s[0:1], -v[180:181]
	v_add_f64 v[90:91], v[94:95], v[90:91]
	v_fma_f64 v[94:95], v[138:139], s[0:1], v[182:183]
	v_add_f64 v[92:93], v[94:95], v[92:93]
	v_fma_f64 v[94:95], v[142:143], s[4:5], -v[184:185]
	v_add_f64 v[90:91], v[94:95], v[90:91]
	v_fma_f64 v[94:95], v[146:147], s[4:5], v[186:187]
	;; [unrolled: 4-line block ×3, first 2 shown]
	v_add_f64 v[92:93], v[94:95], v[92:93]
	v_fma_f64 v[94:95], v[64:65], s[6:7], -v[192:193]
	v_add_f64 v[94:95], v[94:95], v[114:115]
	v_mul_f64 v[114:115], v[120:121], s[30:31]
	v_add_f64 v[94:95], v[98:99], v[94:95]
	v_fma_f64 v[96:97], v[122:123], s[6:7], v[114:115]
	v_fma_f64 v[98:99], v[130:131], s[0:1], v[196:197]
	v_fma_f64 v[38:39], v[122:123], s[6:7], -v[114:115]
	v_add_f64 v[96:97], v[96:97], v[104:105]
	v_add_f64 v[38:39], v[38:39], v[58:59]
	v_fma_f64 v[58:59], v[138:139], s[0:1], -v[182:183]
	v_add_f64 v[96:97], v[98:99], v[96:97]
	v_fma_f64 v[98:99], v[134:135], s[12:13], -v[198:199]
	v_add_f64 v[94:95], v[98:99], v[94:95]
	v_fma_f64 v[98:99], v[138:139], s[12:13], v[200:201]
	v_add_f64 v[96:97], v[98:99], v[96:97]
	v_fma_f64 v[98:99], v[142:143], s[14:15], -v[202:203]
	v_add_f64 v[94:95], v[98:99], v[94:95]
	v_fma_f64 v[98:99], v[146:147], s[14:15], v[204:205]
	;; [unrolled: 4-line block ×4, first 2 shown]
	v_add_f64 v[98:99], v[98:99], v[106:107]
	v_mul_f64 v[106:107], v[124:125], s[22:23]
	v_fma_f64 v[100:101], v[126:127], s[4:5], -v[106:107]
	v_fma_f64 v[12:13], v[126:127], s[4:5], v[106:107]
	v_fma_f64 v[106:107], v[130:131], s[14:15], -v[160:161]
	v_add_f64 v[74:75], v[100:101], v[74:75]
	v_fma_f64 v[100:101], v[130:131], s[4:5], v[215:216]
	v_add_f64 v[12:13], v[12:13], v[22:23]
	v_add_f64 v[98:99], v[100:101], v[98:99]
	v_fma_f64 v[100:101], v[134:135], s[14:15], -v[217:218]
	v_add_f64 v[8:9], v[8:9], v[12:13]
	v_add_f64 v[74:75], v[100:101], v[74:75]
	v_fma_f64 v[100:101], v[138:139], s[14:15], v[219:220]
	v_add_f64 v[98:99], v[100:101], v[98:99]
	v_fma_f64 v[100:101], v[142:143], s[0:1], -v[221:222]
	v_add_f64 v[74:75], v[100:101], v[74:75]
	v_fma_f64 v[100:101], v[146:147], s[0:1], v[223:224]
	v_add_f64 v[100:101], v[100:101], v[98:99]
	v_fma_f64 v[98:99], v[152:153], s[8:9], -v[225:226]
	v_add_f64 v[98:99], v[98:99], v[74:75]
	v_mul_f64 v[74:75], v[156:157], s[16:17]
	v_fma_f64 v[102:103], v[158:159], s[8:9], v[74:75]
	v_fma_f64 v[48:49], v[158:159], s[8:9], -v[74:75]
	v_add_f64 v[100:101], v[102:103], v[100:101]
	v_fma_f64 v[102:103], v[64:65], s[0:1], -v[118:119]
	v_fma_f64 v[118:119], v[64:65], s[0:1], v[118:119]
	v_fma_f64 v[64:65], v[130:131], s[4:5], -v[215:216]
	v_add_f64 v[102:103], v[102:103], v[116:117]
	v_mul_f64 v[116:117], v[120:121], s[20:21]
	v_add_f64 v[68:69], v[118:119], v[68:69]
	v_add_f64 v[22:23], v[64:65], v[36:37]
	;; [unrolled: 1-line block ×4, first 2 shown]
	v_fma_f64 v[42:43], v[142:143], s[0:1], v[221:222]
	v_fma_f64 v[104:105], v[122:123], s[0:1], v[116:117]
	v_fma_f64 v[116:117], v[122:123], s[0:1], -v[116:117]
	v_add_f64 v[12:13], v[52:53], v[22:23]
	v_add_f64 v[22:23], v[54:55], v[36:37]
	v_fma_f64 v[36:37], v[152:153], s[6:7], v[188:189]
	v_add_f64 v[8:9], v[42:43], v[8:9]
	v_fma_f64 v[52:53], v[158:159], s[6:7], -v[190:191]
	v_fma_f64 v[54:55], v[158:159], s[0:1], -v[172:173]
	v_add_f64 v[104:105], v[104:105], v[108:109]
	v_mul_f64 v[108:109], v[124:125], s[18:19]
	v_add_f64 v[66:67], v[116:117], v[66:67]
	v_add_f64 v[12:13], v[62:63], v[12:13]
	;; [unrolled: 1-line block ×3, first 2 shown]
	v_fma_f64 v[120:121], v[126:127], s[6:7], -v[108:109]
	v_fma_f64 v[108:109], v[126:127], s[6:7], v[108:109]
	v_add_f64 v[102:103], v[120:121], v[102:103]
	v_mul_f64 v[120:121], v[128:129], s[18:19]
	v_add_f64 v[68:69], v[108:109], v[68:69]
	v_fma_f64 v[124:125], v[130:131], s[6:7], v[120:121]
	v_fma_f64 v[108:109], v[130:131], s[6:7], -v[120:121]
	v_add_f64 v[104:105], v[124:125], v[104:105]
	v_mul_f64 v[124:125], v[132:133], s[24:25]
	v_add_f64 v[66:67], v[108:109], v[66:67]
	v_fma_f64 v[128:129], v[134:135], s[4:5], -v[124:125]
	v_fma_f64 v[108:109], v[134:135], s[4:5], v[124:125]
	v_add_f64 v[102:103], v[128:129], v[102:103]
	v_mul_f64 v[128:129], v[136:137], s[24:25]
	v_add_f64 v[68:69], v[108:109], v[68:69]
	v_fma_f64 v[132:133], v[138:139], s[4:5], v[128:129]
	v_fma_f64 v[108:109], v[138:139], s[4:5], -v[128:129]
	v_add_f64 v[104:105], v[132:133], v[104:105]
	v_mul_f64 v[132:133], v[140:141], s[16:17]
	v_add_f64 v[66:67], v[108:109], v[66:67]
	v_fma_f64 v[136:137], v[142:143], s[8:9], -v[132:133]
	v_fma_f64 v[108:109], v[142:143], s[8:9], v[132:133]
	v_add_f64 v[102:103], v[136:137], v[102:103]
	v_mul_f64 v[136:137], v[144:145], s[16:17]
	v_mul_f64 v[144:145], v[156:157], s[28:29]
	v_add_f64 v[68:69], v[108:109], v[68:69]
	v_fma_f64 v[140:141], v[146:147], s[8:9], v[136:137]
	v_fma_f64 v[108:109], v[146:147], s[8:9], -v[136:137]
	v_fma_f64 v[116:117], v[158:159], s[12:13], -v[144:145]
	v_add_f64 v[104:105], v[140:141], v[104:105]
	v_mul_f64 v[140:141], v[150:151], s[28:29]
	v_add_f64 v[108:109], v[108:109], v[66:67]
	v_fma_f64 v[66:67], v[152:153], s[12:13], v[140:141]
	v_fma_f64 v[150:151], v[152:153], s[12:13], -v[140:141]
	v_add_f64 v[66:67], v[66:67], v[68:69]
	v_add_f64 v[68:69], v[116:117], v[108:109]
	v_fma_f64 v[108:109], v[130:131], s[8:9], -v[178:179]
	v_add_f64 v[102:103], v[150:151], v[102:103]
	v_fma_f64 v[150:151], v[158:159], s[12:13], v[144:145]
	v_add_f64 v[30:31], v[108:109], v[40:41]
	v_fma_f64 v[40:41], v[142:143], s[4:5], v[184:185]
	v_add_f64 v[104:105], v[150:151], v[104:105]
	v_add_f64 v[28:29], v[58:59], v[30:31]
	;; [unrolled: 1-line block ×4, first 2 shown]
	v_fma_f64 v[38:39], v[152:153], s[0:1], v[170:171]
	v_add_f64 v[22:23], v[60:61], v[28:29]
	v_add_f64 v[26:27], v[46:47], v[30:31]
	;; [unrolled: 1-line block ×14, first 2 shown]
	ds_write_b128 v79, v[70:73] offset:544
	ds_write_b128 v79, v[86:89] offset:1088
	;; [unrolled: 1-line block ×12, first 2 shown]
	ds_write_b128 v79, v[20:23]
	s_waitcnt lgkmcnt(0)
	s_barrier
	buffer_gl0_inv
	s_and_saveexec_b32 s0, vcc_lo
	s_cbranch_execz .LBB0_28
; %bb.27:
	v_mul_lo_u32 v2, s3, v80
	v_mul_lo_u32 v3, s2, v81
	v_mad_u64_u32 v[0:1], null, s2, v80, 0
	v_mov_b32_e32 v79, 0
	v_lshlrev_b64 v[8:9], 4, v[76:77]
	v_lshl_add_u32 v28, v78, 4, v210
	v_add_nc_u32_e32 v10, 34, v78
	v_add_nc_u32_e32 v12, 0x44, v78
	v_lshlrev_b64 v[14:15], 4, v[78:79]
	v_add3_u32 v1, v1, v3, v2
	v_mov_b32_e32 v11, v79
	v_mov_b32_e32 v13, v79
	v_add_nc_u32_e32 v22, 0x66, v78
	v_mov_b32_e32 v23, v79
	v_lshlrev_b64 v[16:17], 4, v[0:1]
	ds_read_b128 v[0:3], v28
	ds_read_b128 v[4:7], v28 offset:544
	v_add_nc_u32_e32 v24, 0x88, v78
	v_mov_b32_e32 v25, v79
	v_lshlrev_b64 v[22:23], 4, v[22:23]
	v_add_co_u32 v18, vcc_lo, s10, v16
	v_add_co_ci_u32_e32 v19, vcc_lo, s11, v17, vcc_lo
	v_lshlrev_b64 v[16:17], 4, v[10:11]
	v_add_co_u32 v30, vcc_lo, v18, v8
	v_add_co_ci_u32_e32 v31, vcc_lo, v19, v9, vcc_lo
	;; [unrolled: 3-line block ×3, first 2 shown]
	ds_read_b128 v[8:11], v28 offset:1088
	ds_read_b128 v[12:15], v28 offset:1632
	v_add_co_u32 v16, vcc_lo, v30, v16
	v_add_co_ci_u32_e32 v17, vcc_lo, v31, v17, vcc_lo
	v_add_co_u32 v18, vcc_lo, v30, v18
	v_add_co_ci_u32_e32 v19, vcc_lo, v31, v19, vcc_lo
	v_add_co_u32 v22, vcc_lo, v30, v22
	v_add_co_ci_u32_e32 v23, vcc_lo, v31, v23, vcc_lo
	s_waitcnt lgkmcnt(3)
	global_store_dwordx4 v[20:21], v[0:3], off
	s_waitcnt lgkmcnt(2)
	global_store_dwordx4 v[16:17], v[4:7], off
	;; [unrolled: 2-line block ×4, first 2 shown]
	v_lshlrev_b64 v[0:1], 4, v[24:25]
	v_add_nc_u32_e32 v8, 0xaa, v78
	v_mov_b32_e32 v9, v79
	v_add_nc_u32_e32 v10, 0xcc, v78
	v_mov_b32_e32 v11, v79
	v_add_nc_u32_e32 v22, 0xee, v78
	v_add_co_u32 v16, vcc_lo, v30, v0
	v_add_co_ci_u32_e32 v17, vcc_lo, v31, v1, vcc_lo
	ds_read_b128 v[0:3], v28 offset:2176
	ds_read_b128 v[4:7], v28 offset:2720
	v_lshlrev_b64 v[18:19], 4, v[8:9]
	v_lshlrev_b64 v[20:21], 4, v[10:11]
	ds_read_b128 v[8:11], v28 offset:3264
	ds_read_b128 v[12:15], v28 offset:3808
	v_mov_b32_e32 v23, v79
	v_add_nc_u32_e32 v24, 0x110, v78
	v_add_co_u32 v18, vcc_lo, v30, v18
	v_lshlrev_b64 v[22:23], 4, v[22:23]
	v_add_co_ci_u32_e32 v19, vcc_lo, v31, v19, vcc_lo
	v_add_co_u32 v20, vcc_lo, v30, v20
	v_add_co_ci_u32_e32 v21, vcc_lo, v31, v21, vcc_lo
	v_add_co_u32 v22, vcc_lo, v30, v22
	s_waitcnt lgkmcnt(3)
	global_store_dwordx4 v[16:17], v[0:3], off
	s_waitcnt lgkmcnt(2)
	global_store_dwordx4 v[18:19], v[4:7], off
	v_add_nc_u32_e32 v2, 0x132, v78
	v_mov_b32_e32 v3, v79
	v_add_co_ci_u32_e32 v23, vcc_lo, v31, v23, vcc_lo
	v_lshlrev_b64 v[0:1], 4, v[24:25]
	s_waitcnt lgkmcnt(1)
	global_store_dwordx4 v[20:21], v[8:11], off
	s_waitcnt lgkmcnt(0)
	global_store_dwordx4 v[22:23], v[12:15], off
	v_lshlrev_b64 v[8:9], 4, v[2:3]
	v_add_nc_u32_e32 v10, 0x154, v78
	v_mov_b32_e32 v11, v79
	v_add_co_u32 v20, vcc_lo, v30, v0
	v_add_co_ci_u32_e32 v21, vcc_lo, v31, v1, vcc_lo
	v_add_co_u32 v22, vcc_lo, v30, v8
	ds_read_b128 v[0:3], v28 offset:4352
	ds_read_b128 v[4:7], v28 offset:4896
	v_add_co_ci_u32_e32 v23, vcc_lo, v31, v9, vcc_lo
	v_lshlrev_b64 v[26:27], 4, v[10:11]
	ds_read_b128 v[8:11], v28 offset:5440
	ds_read_b128 v[12:15], v28 offset:5984
	;; [unrolled: 1-line block ×3, first 2 shown]
	v_add_nc_u32_e32 v24, 0x176, v78
	v_add_nc_u32_e32 v78, 0x198, v78
	v_add_co_u32 v26, vcc_lo, v30, v26
	v_lshlrev_b64 v[24:25], 4, v[24:25]
	v_lshlrev_b64 v[28:29], 4, v[78:79]
	v_add_co_ci_u32_e32 v27, vcc_lo, v31, v27, vcc_lo
	v_add_co_u32 v24, vcc_lo, v30, v24
	v_add_co_ci_u32_e32 v25, vcc_lo, v31, v25, vcc_lo
	v_add_co_u32 v28, vcc_lo, v30, v28
	v_add_co_ci_u32_e32 v29, vcc_lo, v31, v29, vcc_lo
	s_waitcnt lgkmcnt(4)
	global_store_dwordx4 v[20:21], v[0:3], off
	s_waitcnt lgkmcnt(3)
	global_store_dwordx4 v[22:23], v[4:7], off
	;; [unrolled: 2-line block ×5, first 2 shown]
.LBB0_28:
	s_endpgm
	.section	.rodata,"a",@progbits
	.p2align	6, 0x0
	.amdhsa_kernel fft_rtc_fwd_len442_factors_17_2_13_wgs_238_tpt_34_halfLds_dp_op_CI_CI_unitstride_sbrr_C2R_dirReg
		.amdhsa_group_segment_fixed_size 0
		.amdhsa_private_segment_fixed_size 200
		.amdhsa_kernarg_size 104
		.amdhsa_user_sgpr_count 6
		.amdhsa_user_sgpr_private_segment_buffer 1
		.amdhsa_user_sgpr_dispatch_ptr 0
		.amdhsa_user_sgpr_queue_ptr 0
		.amdhsa_user_sgpr_kernarg_segment_ptr 1
		.amdhsa_user_sgpr_dispatch_id 0
		.amdhsa_user_sgpr_flat_scratch_init 0
		.amdhsa_user_sgpr_private_segment_size 0
		.amdhsa_wavefront_size32 1
		.amdhsa_uses_dynamic_stack 0
		.amdhsa_system_sgpr_private_segment_wavefront_offset 1
		.amdhsa_system_sgpr_workgroup_id_x 1
		.amdhsa_system_sgpr_workgroup_id_y 0
		.amdhsa_system_sgpr_workgroup_id_z 0
		.amdhsa_system_sgpr_workgroup_info 0
		.amdhsa_system_vgpr_workitem_id 0
		.amdhsa_next_free_vgpr 256
		.amdhsa_next_free_sgpr 64
		.amdhsa_reserve_vcc 1
		.amdhsa_reserve_flat_scratch 0
		.amdhsa_float_round_mode_32 0
		.amdhsa_float_round_mode_16_64 0
		.amdhsa_float_denorm_mode_32 3
		.amdhsa_float_denorm_mode_16_64 3
		.amdhsa_dx10_clamp 1
		.amdhsa_ieee_mode 1
		.amdhsa_fp16_overflow 0
		.amdhsa_workgroup_processor_mode 1
		.amdhsa_memory_ordered 1
		.amdhsa_forward_progress 0
		.amdhsa_shared_vgpr_count 0
		.amdhsa_exception_fp_ieee_invalid_op 0
		.amdhsa_exception_fp_denorm_src 0
		.amdhsa_exception_fp_ieee_div_zero 0
		.amdhsa_exception_fp_ieee_overflow 0
		.amdhsa_exception_fp_ieee_underflow 0
		.amdhsa_exception_fp_ieee_inexact 0
		.amdhsa_exception_int_div_zero 0
	.end_amdhsa_kernel
	.text
.Lfunc_end0:
	.size	fft_rtc_fwd_len442_factors_17_2_13_wgs_238_tpt_34_halfLds_dp_op_CI_CI_unitstride_sbrr_C2R_dirReg, .Lfunc_end0-fft_rtc_fwd_len442_factors_17_2_13_wgs_238_tpt_34_halfLds_dp_op_CI_CI_unitstride_sbrr_C2R_dirReg
                                        ; -- End function
	.section	.AMDGPU.csdata,"",@progbits
; Kernel info:
; codeLenInByte = 17156
; NumSgprs: 66
; NumVgprs: 256
; ScratchSize: 200
; MemoryBound: 0
; FloatMode: 240
; IeeeMode: 1
; LDSByteSize: 0 bytes/workgroup (compile time only)
; SGPRBlocks: 8
; VGPRBlocks: 31
; NumSGPRsForWavesPerEU: 66
; NumVGPRsForWavesPerEU: 256
; Occupancy: 4
; WaveLimiterHint : 1
; COMPUTE_PGM_RSRC2:SCRATCH_EN: 1
; COMPUTE_PGM_RSRC2:USER_SGPR: 6
; COMPUTE_PGM_RSRC2:TRAP_HANDLER: 0
; COMPUTE_PGM_RSRC2:TGID_X_EN: 1
; COMPUTE_PGM_RSRC2:TGID_Y_EN: 0
; COMPUTE_PGM_RSRC2:TGID_Z_EN: 0
; COMPUTE_PGM_RSRC2:TIDIG_COMP_CNT: 0
	.text
	.p2alignl 6, 3214868480
	.fill 48, 4, 3214868480
	.type	__hip_cuid_99a1f3d73a8da2b5,@object ; @__hip_cuid_99a1f3d73a8da2b5
	.section	.bss,"aw",@nobits
	.globl	__hip_cuid_99a1f3d73a8da2b5
__hip_cuid_99a1f3d73a8da2b5:
	.byte	0                               ; 0x0
	.size	__hip_cuid_99a1f3d73a8da2b5, 1

	.ident	"AMD clang version 19.0.0git (https://github.com/RadeonOpenCompute/llvm-project roc-6.4.0 25133 c7fe45cf4b819c5991fe208aaa96edf142730f1d)"
	.section	".note.GNU-stack","",@progbits
	.addrsig
	.addrsig_sym __hip_cuid_99a1f3d73a8da2b5
	.amdgpu_metadata
---
amdhsa.kernels:
  - .args:
      - .actual_access:  read_only
        .address_space:  global
        .offset:         0
        .size:           8
        .value_kind:     global_buffer
      - .offset:         8
        .size:           8
        .value_kind:     by_value
      - .actual_access:  read_only
        .address_space:  global
        .offset:         16
        .size:           8
        .value_kind:     global_buffer
      - .actual_access:  read_only
        .address_space:  global
        .offset:         24
        .size:           8
        .value_kind:     global_buffer
      - .actual_access:  read_only
        .address_space:  global
        .offset:         32
        .size:           8
        .value_kind:     global_buffer
      - .offset:         40
        .size:           8
        .value_kind:     by_value
      - .actual_access:  read_only
        .address_space:  global
        .offset:         48
        .size:           8
        .value_kind:     global_buffer
      - .actual_access:  read_only
        .address_space:  global
        .offset:         56
        .size:           8
        .value_kind:     global_buffer
      - .offset:         64
        .size:           4
        .value_kind:     by_value
      - .actual_access:  read_only
        .address_space:  global
        .offset:         72
        .size:           8
        .value_kind:     global_buffer
      - .actual_access:  read_only
        .address_space:  global
        .offset:         80
        .size:           8
        .value_kind:     global_buffer
      - .actual_access:  read_only
        .address_space:  global
        .offset:         88
        .size:           8
        .value_kind:     global_buffer
      - .actual_access:  write_only
        .address_space:  global
        .offset:         96
        .size:           8
        .value_kind:     global_buffer
    .group_segment_fixed_size: 0
    .kernarg_segment_align: 8
    .kernarg_segment_size: 104
    .language:       OpenCL C
    .language_version:
      - 2
      - 0
    .max_flat_workgroup_size: 238
    .name:           fft_rtc_fwd_len442_factors_17_2_13_wgs_238_tpt_34_halfLds_dp_op_CI_CI_unitstride_sbrr_C2R_dirReg
    .private_segment_fixed_size: 200
    .sgpr_count:     66
    .sgpr_spill_count: 0
    .symbol:         fft_rtc_fwd_len442_factors_17_2_13_wgs_238_tpt_34_halfLds_dp_op_CI_CI_unitstride_sbrr_C2R_dirReg.kd
    .uniform_work_group_size: 1
    .uses_dynamic_stack: false
    .vgpr_count:     256
    .vgpr_spill_count: 49
    .wavefront_size: 32
    .workgroup_processor_mode: 1
amdhsa.target:   amdgcn-amd-amdhsa--gfx1030
amdhsa.version:
  - 1
  - 2
...

	.end_amdgpu_metadata
